;; amdgpu-corpus repo=ROCm/rocFFT kind=compiled arch=gfx950 opt=O3
	.text
	.amdgcn_target "amdgcn-amd-amdhsa--gfx950"
	.amdhsa_code_object_version 6
	.protected	fft_rtc_fwd_len1248_factors_2_2_13_2_3_2_2_wgs_52_tpt_52_halfLds_dp_ip_CI_unitstride_sbrr_C2R_dirReg ; -- Begin function fft_rtc_fwd_len1248_factors_2_2_13_2_3_2_2_wgs_52_tpt_52_halfLds_dp_ip_CI_unitstride_sbrr_C2R_dirReg
	.globl	fft_rtc_fwd_len1248_factors_2_2_13_2_3_2_2_wgs_52_tpt_52_halfLds_dp_ip_CI_unitstride_sbrr_C2R_dirReg
	.p2align	8
	.type	fft_rtc_fwd_len1248_factors_2_2_13_2_3_2_2_wgs_52_tpt_52_halfLds_dp_ip_CI_unitstride_sbrr_C2R_dirReg,@function
fft_rtc_fwd_len1248_factors_2_2_13_2_3_2_2_wgs_52_tpt_52_halfLds_dp_ip_CI_unitstride_sbrr_C2R_dirReg: ; @fft_rtc_fwd_len1248_factors_2_2_13_2_3_2_2_wgs_52_tpt_52_halfLds_dp_ip_CI_unitstride_sbrr_C2R_dirReg
; %bb.0:
	s_load_dwordx2 s[8:9], s[0:1], 0x50
	s_load_dwordx4 s[4:7], s[0:1], 0x0
	s_load_dwordx2 s[10:11], s[0:1], 0x18
	v_mul_u32_u24_e32 v1, 0x4ed, v0
	v_add_u32_sdwa v6, s2, v1 dst_sel:DWORD dst_unused:UNUSED_PAD src0_sel:DWORD src1_sel:WORD_1
	v_mov_b32_e32 v4, 0
	s_waitcnt lgkmcnt(0)
	v_cmp_lt_u64_e64 s[2:3], s[6:7], 2
	v_mov_b32_e32 v7, v4
	s_and_b64 vcc, exec, s[2:3]
	v_mov_b64_e32 v[2:3], 0
	s_cbranch_vccnz .LBB0_8
; %bb.1:
	s_load_dwordx2 s[2:3], s[0:1], 0x10
	s_add_u32 s12, s10, 8
	s_addc_u32 s13, s11, 0
	s_mov_b64 s[14:15], 1
	v_mov_b64_e32 v[2:3], 0
	s_waitcnt lgkmcnt(0)
	s_add_u32 s16, s2, 8
	s_addc_u32 s17, s3, 0
.LBB0_2:                                ; =>This Inner Loop Header: Depth=1
	s_load_dwordx2 s[18:19], s[16:17], 0x0
                                        ; implicit-def: $vgpr8_vgpr9
	s_waitcnt lgkmcnt(0)
	v_or_b32_e32 v5, s19, v7
	v_cmp_ne_u64_e32 vcc, 0, v[4:5]
	s_and_saveexec_b64 s[2:3], vcc
	s_xor_b64 s[20:21], exec, s[2:3]
	s_cbranch_execz .LBB0_4
; %bb.3:                                ;   in Loop: Header=BB0_2 Depth=1
	v_cvt_f32_u32_e32 v1, s18
	v_cvt_f32_u32_e32 v5, s19
	s_sub_u32 s2, 0, s18
	s_subb_u32 s3, 0, s19
	v_fmac_f32_e32 v1, 0x4f800000, v5
	v_rcp_f32_e32 v1, v1
	s_nop 0
	v_mul_f32_e32 v1, 0x5f7ffffc, v1
	v_mul_f32_e32 v5, 0x2f800000, v1
	v_trunc_f32_e32 v5, v5
	v_fmac_f32_e32 v1, 0xcf800000, v5
	v_cvt_u32_f32_e32 v5, v5
	v_cvt_u32_f32_e32 v1, v1
	v_mul_lo_u32 v8, s2, v5
	v_mul_hi_u32 v10, s2, v1
	v_mul_lo_u32 v9, s3, v1
	v_add_u32_e32 v10, v10, v8
	v_mul_lo_u32 v12, s2, v1
	v_add_u32_e32 v13, v10, v9
	v_mul_hi_u32 v8, v1, v12
	v_mul_hi_u32 v11, v1, v13
	v_mul_lo_u32 v10, v1, v13
	v_mov_b32_e32 v9, v4
	v_lshl_add_u64 v[8:9], v[8:9], 0, v[10:11]
	v_mul_hi_u32 v11, v5, v12
	v_mul_lo_u32 v12, v5, v12
	v_add_co_u32_e32 v8, vcc, v8, v12
	v_mul_hi_u32 v10, v5, v13
	s_nop 0
	v_addc_co_u32_e32 v8, vcc, v9, v11, vcc
	v_mov_b32_e32 v9, v4
	s_nop 0
	v_addc_co_u32_e32 v11, vcc, 0, v10, vcc
	v_mul_lo_u32 v10, v5, v13
	v_lshl_add_u64 v[8:9], v[8:9], 0, v[10:11]
	v_add_co_u32_e32 v1, vcc, v1, v8
	v_mul_lo_u32 v10, s2, v1
	s_nop 0
	v_addc_co_u32_e32 v5, vcc, v5, v9, vcc
	v_mul_lo_u32 v8, s2, v5
	v_mul_hi_u32 v9, s2, v1
	v_add_u32_e32 v8, v9, v8
	v_mul_lo_u32 v9, s3, v1
	v_add_u32_e32 v12, v8, v9
	v_mul_hi_u32 v14, v5, v10
	v_mul_lo_u32 v15, v5, v10
	v_mul_hi_u32 v9, v1, v12
	v_mul_lo_u32 v8, v1, v12
	v_mul_hi_u32 v10, v1, v10
	v_mov_b32_e32 v11, v4
	v_lshl_add_u64 v[8:9], v[10:11], 0, v[8:9]
	v_add_co_u32_e32 v8, vcc, v8, v15
	v_mul_hi_u32 v13, v5, v12
	s_nop 0
	v_addc_co_u32_e32 v8, vcc, v9, v14, vcc
	v_mul_lo_u32 v10, v5, v12
	s_nop 0
	v_addc_co_u32_e32 v11, vcc, 0, v13, vcc
	v_mov_b32_e32 v9, v4
	v_lshl_add_u64 v[8:9], v[8:9], 0, v[10:11]
	v_add_co_u32_e32 v1, vcc, v1, v8
	v_mul_hi_u32 v10, v6, v1
	s_nop 0
	v_addc_co_u32_e32 v5, vcc, v5, v9, vcc
	v_mad_u64_u32 v[8:9], s[2:3], v6, v5, 0
	v_mov_b32_e32 v11, v4
	v_lshl_add_u64 v[8:9], v[10:11], 0, v[8:9]
	v_mad_u64_u32 v[12:13], s[2:3], v7, v1, 0
	v_add_co_u32_e32 v1, vcc, v8, v12
	v_mad_u64_u32 v[10:11], s[2:3], v7, v5, 0
	s_nop 0
	v_addc_co_u32_e32 v8, vcc, v9, v13, vcc
	v_mov_b32_e32 v9, v4
	s_nop 0
	v_addc_co_u32_e32 v11, vcc, 0, v11, vcc
	v_lshl_add_u64 v[8:9], v[8:9], 0, v[10:11]
	v_mul_lo_u32 v1, s19, v8
	v_mul_lo_u32 v5, s18, v9
	v_mad_u64_u32 v[10:11], s[2:3], s18, v8, 0
	v_add3_u32 v1, v11, v5, v1
	v_sub_u32_e32 v5, v7, v1
	v_mov_b32_e32 v11, s19
	v_sub_co_u32_e32 v14, vcc, v6, v10
	v_lshl_add_u64 v[12:13], v[8:9], 0, 1
	s_nop 0
	v_subb_co_u32_e64 v5, s[2:3], v5, v11, vcc
	v_subrev_co_u32_e64 v10, s[2:3], s18, v14
	v_subb_co_u32_e32 v1, vcc, v7, v1, vcc
	s_nop 0
	v_subbrev_co_u32_e64 v5, s[2:3], 0, v5, s[2:3]
	v_cmp_le_u32_e64 s[2:3], s19, v5
	v_cmp_le_u32_e32 vcc, s19, v1
	s_nop 0
	v_cndmask_b32_e64 v11, 0, -1, s[2:3]
	v_cmp_le_u32_e64 s[2:3], s18, v10
	s_nop 1
	v_cndmask_b32_e64 v10, 0, -1, s[2:3]
	v_cmp_eq_u32_e64 s[2:3], s19, v5
	s_nop 1
	v_cndmask_b32_e64 v5, v11, v10, s[2:3]
	v_lshl_add_u64 v[10:11], v[8:9], 0, 2
	v_cmp_ne_u32_e64 s[2:3], 0, v5
	s_nop 1
	v_cndmask_b32_e64 v5, v13, v11, s[2:3]
	v_cndmask_b32_e64 v11, 0, -1, vcc
	v_cmp_le_u32_e32 vcc, s18, v14
	s_nop 1
	v_cndmask_b32_e64 v13, 0, -1, vcc
	v_cmp_eq_u32_e32 vcc, s19, v1
	s_nop 1
	v_cndmask_b32_e32 v1, v11, v13, vcc
	v_cmp_ne_u32_e32 vcc, 0, v1
	v_cndmask_b32_e64 v1, v12, v10, s[2:3]
	s_nop 0
	v_cndmask_b32_e32 v9, v9, v5, vcc
	v_cndmask_b32_e32 v8, v8, v1, vcc
.LBB0_4:                                ;   in Loop: Header=BB0_2 Depth=1
	s_andn2_saveexec_b64 s[2:3], s[20:21]
	s_cbranch_execz .LBB0_6
; %bb.5:                                ;   in Loop: Header=BB0_2 Depth=1
	v_cvt_f32_u32_e32 v1, s18
	s_sub_i32 s20, 0, s18
	v_rcp_iflag_f32_e32 v1, v1
	s_nop 0
	v_mul_f32_e32 v1, 0x4f7ffffe, v1
	v_cvt_u32_f32_e32 v1, v1
	v_mul_lo_u32 v5, s20, v1
	v_mul_hi_u32 v5, v1, v5
	v_add_u32_e32 v1, v1, v5
	v_mul_hi_u32 v1, v6, v1
	v_mul_lo_u32 v5, v1, s18
	v_sub_u32_e32 v5, v6, v5
	v_add_u32_e32 v8, 1, v1
	v_subrev_u32_e32 v9, s18, v5
	v_cmp_le_u32_e32 vcc, s18, v5
	s_nop 1
	v_cndmask_b32_e32 v5, v5, v9, vcc
	v_cndmask_b32_e32 v1, v1, v8, vcc
	v_add_u32_e32 v8, 1, v1
	v_cmp_le_u32_e32 vcc, s18, v5
	v_mov_b32_e32 v9, v4
	s_nop 0
	v_cndmask_b32_e32 v8, v1, v8, vcc
.LBB0_6:                                ;   in Loop: Header=BB0_2 Depth=1
	s_or_b64 exec, exec, s[2:3]
	v_mad_u64_u32 v[10:11], s[2:3], v8, s18, 0
	s_load_dwordx2 s[2:3], s[12:13], 0x0
	v_mul_lo_u32 v1, v9, s18
	v_mul_lo_u32 v5, v8, s19
	v_add3_u32 v1, v11, v5, v1
	v_sub_co_u32_e32 v5, vcc, v6, v10
	s_add_u32 s14, s14, 1
	s_nop 0
	v_subb_co_u32_e32 v1, vcc, v7, v1, vcc
	s_addc_u32 s15, s15, 0
	s_waitcnt lgkmcnt(0)
	v_mul_lo_u32 v1, s2, v1
	v_mul_lo_u32 v6, s3, v5
	v_mad_u64_u32 v[2:3], s[2:3], s2, v5, v[2:3]
	s_add_u32 s12, s12, 8
	v_add3_u32 v3, v6, v3, v1
	s_addc_u32 s13, s13, 0
	v_mov_b64_e32 v[6:7], s[6:7]
	s_add_u32 s16, s16, 8
	v_cmp_ge_u64_e32 vcc, s[14:15], v[6:7]
	s_addc_u32 s17, s17, 0
	s_cbranch_vccnz .LBB0_9
; %bb.7:                                ;   in Loop: Header=BB0_2 Depth=1
	v_mov_b64_e32 v[6:7], v[8:9]
	s_branch .LBB0_2
.LBB0_8:
	v_mov_b64_e32 v[8:9], v[6:7]
.LBB0_9:
	s_lshl_b64 s[2:3], s[6:7], 3
	s_add_u32 s2, s10, s2
	s_addc_u32 s3, s11, s3
	s_load_dwordx2 s[6:7], s[2:3], 0x0
	s_load_dwordx2 s[10:11], s[0:1], 0x20
	s_mov_b32 s2, 0x4ec4ec5
	v_mov_b32_e32 v159, 0
	s_waitcnt lgkmcnt(0)
	v_mul_lo_u32 v1, s6, v9
	v_mul_lo_u32 v4, s7, v8
	v_mad_u64_u32 v[2:3], s[0:1], s6, v8, v[2:3]
	v_add3_u32 v3, v4, v3, v1
	v_mul_hi_u32 v1, v0, s2
	v_mul_u32_u24_e32 v1, 52, v1
	v_sub_u32_e32 v158, v0, v1
	v_cmp_gt_u64_e64 s[0:1], s[10:11], v[8:9]
	v_lshl_add_u64 v[152:153], v[2:3], 4, s[8:9]
	v_mov_b32_e32 v154, v158
	s_and_saveexec_b64 s[2:3], s[0:1]
	s_cbranch_execz .LBB0_13
; %bb.10:
	v_lshl_add_u64 v[80:81], v[158:159], 4, v[152:153]
	v_add_co_u32_e32 v44, vcc, 0x1000, v80
	v_or_b32_e32 v16, 0x340, v158
	s_nop 0
	v_addc_co_u32_e32 v45, vcc, 0, v81, vcc
	v_add_co_u32_e32 v82, vcc, 0x2000, v80
	v_mov_b32_e32 v17, v159
	s_nop 0
	v_addc_co_u32_e32 v83, vcc, 0, v81, vcc
	v_add_co_u32_e32 v84, vcc, 0x3000, v80
	v_lshl_add_u64 v[16:17], v[16:17], 4, v[152:153]
	s_nop 0
	v_addc_co_u32_e32 v85, vcc, 0, v81, vcc
	v_add_co_u32_e32 v96, vcc, 0x4000, v80
	global_load_dwordx4 v[0:3], v[80:81], off
	global_load_dwordx4 v[4:7], v[80:81], off offset:832
	global_load_dwordx4 v[8:11], v[80:81], off offset:1664
	global_load_dwordx4 v[12:15], v[80:81], off offset:2496
	v_addc_co_u32_e32 v97, vcc, 0, v81, vcc
	global_load_dwordx4 v[16:19], v[16:17], off
	s_nop 0
	global_load_dwordx4 v[20:23], v[80:81], off offset:3328
	global_load_dwordx4 v[24:27], v[44:45], off offset:64
	;; [unrolled: 1-line block ×6, first 2 shown]
	s_nop 0
	global_load_dwordx4 v[44:47], v[82:83], off offset:128
	global_load_dwordx4 v[48:51], v[82:83], off offset:960
	;; [unrolled: 1-line block ×9, first 2 shown]
	s_nop 0
	global_load_dwordx4 v[80:83], v[96:97], off offset:256
	global_load_dwordx4 v[84:87], v[96:97], off offset:1088
	;; [unrolled: 1-line block ×4, first 2 shown]
	v_lshl_add_u32 v96, v158, 4, 0
	v_cmp_eq_u32_e32 vcc, 51, v158
	s_waitcnt vmcnt(23)
	ds_write_b128 v96, v[0:3]
	s_waitcnt vmcnt(22)
	ds_write_b128 v96, v[4:7] offset:832
	s_waitcnt vmcnt(21)
	ds_write_b128 v96, v[8:11] offset:1664
	;; [unrolled: 2-line block ×4, first 2 shown]
	ds_write_b128 v96, v[16:19] offset:13312
	s_waitcnt vmcnt(17)
	ds_write_b128 v96, v[24:27] offset:4160
	s_waitcnt vmcnt(16)
	;; [unrolled: 2-line block ×13, first 2 shown]
	ds_write_b128 v96, v[76:79] offset:14976
	ds_write_b128 v96, v[60:63] offset:15808
	s_waitcnt vmcnt(3)
	ds_write_b128 v96, v[80:83] offset:16640
	s_waitcnt vmcnt(2)
	ds_write_b128 v96, v[84:87] offset:17472
	s_waitcnt vmcnt(1)
	ds_write_b128 v96, v[88:91] offset:18304
	s_waitcnt vmcnt(0)
	ds_write_b128 v96, v[92:95] offset:19136
	v_mov_b64_e32 v[0:1], v[158:159]
	s_and_saveexec_b64 s[6:7], vcc
	s_cbranch_execz .LBB0_12
; %bb.11:
	v_add_co_u32_e32 v0, vcc, 0x4000, v152
	v_mov_b32_e32 v4, 0
	s_nop 0
	v_addc_co_u32_e32 v1, vcc, 0, v153, vcc
	global_load_dwordx4 v[0:3], v[0:1], off offset:3584
	v_mov_b32_e32 v158, 51
	s_waitcnt vmcnt(0)
	ds_write_b128 v4, v[0:3] offset:19968
	v_mov_b64_e32 v[0:1], 51
.LBB0_12:
	s_or_b64 exec, exec, s[6:7]
	v_mov_b32_e32 v154, v158
	v_mov_b64_e32 v[158:159], v[0:1]
.LBB0_13:
	s_or_b64 exec, exec, s[2:3]
	v_lshlrev_b32_e32 v0, 4, v154
	v_add_u32_e32 v178, 0, v0
	s_waitcnt lgkmcnt(0)
	; wave barrier
	s_waitcnt lgkmcnt(0)
	v_sub_u32_e32 v24, 0, v0
	ds_read_b64 v[4:5], v178
	ds_read_b64 v[6:7], v24 offset:19968
	s_add_u32 s2, s4, 0x4de0
	s_addc_u32 s3, s5, 0
	v_cmp_ne_u32_e32 vcc, 0, v154
	s_waitcnt lgkmcnt(0)
	v_add_f64 v[0:1], v[4:5], v[6:7]
	v_add_f64 v[2:3], v[4:5], -v[6:7]
	s_and_saveexec_b64 s[6:7], vcc
	s_xor_b64 s[6:7], exec, s[6:7]
	s_cbranch_execz .LBB0_15
; %bb.14:
	v_lshl_add_u64 v[0:1], v[158:159], 4, s[2:3]
	global_load_dwordx4 v[8:11], v[0:1], off
	ds_read_b64 v[0:1], v24 offset:19976
	ds_read_b64 v[2:3], v178 offset:8
	v_add_f64 v[12:13], v[4:5], v[6:7]
	v_add_f64 v[14:15], v[4:5], -v[6:7]
	s_waitcnt lgkmcnt(0)
	v_add_f64 v[16:17], v[0:1], v[2:3]
	v_add_f64 v[0:1], v[2:3], -v[0:1]
	s_waitcnt vmcnt(0)
	v_fma_f64 v[4:5], -v[14:15], v[10:11], v[12:13]
	v_fma_f64 v[6:7], v[16:17], v[10:11], -v[0:1]
	v_fma_f64 v[18:19], v[14:15], v[10:11], v[12:13]
	v_fma_f64 v[2:3], v[16:17], v[10:11], v[0:1]
	v_fmac_f64_e32 v[4:5], v[16:17], v[8:9]
	v_fmac_f64_e32 v[6:7], v[14:15], v[8:9]
	v_fma_f64 v[0:1], -v[16:17], v[8:9], v[18:19]
	v_fmac_f64_e32 v[2:3], v[14:15], v[8:9]
	ds_write_b128 v24, v[4:7] offset:19968
.LBB0_15:
	s_andn2_saveexec_b64 s[6:7], s[6:7]
	s_cbranch_execz .LBB0_17
; %bb.16:
	v_mov_b32_e32 v8, 0
	ds_read_b128 v[4:7], v8 offset:9984
	s_waitcnt lgkmcnt(0)
	v_add_f64 v[4:5], v[4:5], v[4:5]
	v_mul_f64 v[6:7], v[6:7], -2.0
	ds_write_b128 v8, v[4:7] offset:9984
.LBB0_17:
	s_or_b64 exec, exec, s[6:7]
	v_mov_b32_e32 v155, 0
	v_lshl_add_u64 v[20:21], v[154:155], 4, s[2:3]
	global_load_dwordx4 v[4:7], v[20:21], off offset:832
	global_load_dwordx4 v[8:11], v[20:21], off offset:1664
	;; [unrolled: 1-line block ×4, first 2 shown]
	s_movk_i32 s2, 0x1000
	v_add_co_u32_e32 v22, vcc, s2, v20
	ds_write_b128 v178, v[0:3]
	s_nop 0
	v_addc_co_u32_e32 v23, vcc, 0, v21, vcc
	ds_read_b128 v[26:29], v178 offset:832
	ds_read_b128 v[30:33], v24 offset:19136
	global_load_dwordx4 v[0:3], v[22:23], off offset:64
	s_movk_i32 s2, 0x2000
	v_lshl_add_u32 v96, v154, 5, 0
	v_add_u32_e32 v187, 52, v154
	s_waitcnt lgkmcnt(0)
	v_add_f64 v[34:35], v[26:27], v[30:31]
	v_add_f64 v[36:37], v[32:33], v[28:29]
	v_add_f64 v[38:39], v[26:27], -v[30:31]
	v_add_f64 v[26:27], v[28:29], -v[32:33]
	v_add_u32_e32 v186, 0x68, v154
	v_add_u32_e32 v185, 0x9c, v154
	;; [unrolled: 1-line block ×10, first 2 shown]
	v_lshlrev_b32_e32 v156, 1, v154
	v_lshlrev_b32_e32 v160, 1, v187
	s_movk_i32 s3, 0x2fc
	s_waitcnt vmcnt(4)
	v_fma_f64 v[40:41], v[38:39], v[6:7], v[34:35]
	v_fma_f64 v[28:29], v[36:37], v[6:7], v[26:27]
	v_fma_f64 v[30:31], -v[38:39], v[6:7], v[34:35]
	v_fma_f64 v[32:33], v[36:37], v[6:7], -v[26:27]
	v_fma_f64 v[26:27], -v[36:37], v[4:5], v[40:41]
	v_fmac_f64_e32 v[28:29], v[38:39], v[4:5]
	v_fmac_f64_e32 v[30:31], v[36:37], v[4:5]
	v_fmac_f64_e32 v[32:33], v[38:39], v[4:5]
	ds_write_b128 v178, v[26:29] offset:832
	ds_write_b128 v24, v[30:33] offset:19136
	ds_read_b128 v[26:29], v178 offset:1664
	ds_read_b128 v[30:33], v24 offset:18304
	global_load_dwordx4 v[4:7], v[22:23], off offset:896
	s_waitcnt lgkmcnt(0)
	v_add_f64 v[34:35], v[26:27], v[30:31]
	v_add_f64 v[36:37], v[32:33], v[28:29]
	v_add_f64 v[38:39], v[26:27], -v[30:31]
	v_add_f64 v[26:27], v[28:29], -v[32:33]
	s_waitcnt vmcnt(4)
	v_fma_f64 v[40:41], v[38:39], v[10:11], v[34:35]
	v_fma_f64 v[28:29], v[36:37], v[10:11], v[26:27]
	v_fma_f64 v[30:31], -v[38:39], v[10:11], v[34:35]
	v_fma_f64 v[32:33], v[36:37], v[10:11], -v[26:27]
	v_fma_f64 v[26:27], -v[36:37], v[8:9], v[40:41]
	v_fmac_f64_e32 v[28:29], v[38:39], v[8:9]
	v_fmac_f64_e32 v[30:31], v[36:37], v[8:9]
	v_fmac_f64_e32 v[32:33], v[38:39], v[8:9]
	ds_write_b128 v178, v[26:29] offset:1664
	ds_write_b128 v24, v[30:33] offset:18304
	ds_read_b128 v[26:29], v178 offset:2496
	ds_read_b128 v[30:33], v24 offset:17472
	global_load_dwordx4 v[8:11], v[22:23], off offset:1728
	s_waitcnt lgkmcnt(0)
	v_add_f64 v[34:35], v[26:27], v[30:31]
	v_add_f64 v[36:37], v[32:33], v[28:29]
	v_add_f64 v[38:39], v[26:27], -v[30:31]
	v_add_f64 v[26:27], v[28:29], -v[32:33]
	s_waitcnt vmcnt(4)
	v_fma_f64 v[40:41], v[38:39], v[18:19], v[34:35]
	v_fma_f64 v[28:29], v[36:37], v[18:19], v[26:27]
	v_fma_f64 v[30:31], -v[38:39], v[18:19], v[34:35]
	v_fma_f64 v[32:33], v[36:37], v[18:19], -v[26:27]
	v_fma_f64 v[26:27], -v[36:37], v[16:17], v[40:41]
	v_fmac_f64_e32 v[28:29], v[38:39], v[16:17]
	v_fmac_f64_e32 v[30:31], v[36:37], v[16:17]
	v_fmac_f64_e32 v[32:33], v[38:39], v[16:17]
	ds_write_b128 v178, v[26:29] offset:2496
	ds_write_b128 v24, v[30:33] offset:17472
	ds_read_b128 v[26:29], v178 offset:3328
	ds_read_b128 v[30:33], v24 offset:16640
	global_load_dwordx4 v[16:19], v[22:23], off offset:2560
	s_waitcnt lgkmcnt(0)
	v_add_f64 v[34:35], v[26:27], v[30:31]
	v_add_f64 v[36:37], v[32:33], v[28:29]
	v_add_f64 v[38:39], v[26:27], -v[30:31]
	v_add_f64 v[26:27], v[28:29], -v[32:33]
	s_waitcnt vmcnt(4)
	v_fma_f64 v[40:41], v[38:39], v[14:15], v[34:35]
	v_fma_f64 v[28:29], v[36:37], v[14:15], v[26:27]
	v_fma_f64 v[30:31], -v[38:39], v[14:15], v[34:35]
	v_fma_f64 v[32:33], v[36:37], v[14:15], -v[26:27]
	v_fma_f64 v[26:27], -v[36:37], v[12:13], v[40:41]
	v_fmac_f64_e32 v[28:29], v[38:39], v[12:13]
	v_fmac_f64_e32 v[30:31], v[36:37], v[12:13]
	v_fmac_f64_e32 v[32:33], v[38:39], v[12:13]
	ds_write_b128 v178, v[26:29] offset:3328
	ds_write_b128 v24, v[30:33] offset:16640
	ds_read_b128 v[12:15], v178 offset:4160
	ds_read_b128 v[26:29], v24 offset:15808
	global_load_dwordx4 v[30:33], v[22:23], off offset:3392
	s_waitcnt lgkmcnt(0)
	v_add_f64 v[22:23], v[12:13], v[26:27]
	v_add_f64 v[34:35], v[28:29], v[14:15]
	v_add_f64 v[36:37], v[12:13], -v[26:27]
	v_add_f64 v[12:13], v[14:15], -v[28:29]
	s_waitcnt vmcnt(4)
	v_fma_f64 v[38:39], v[36:37], v[2:3], v[22:23]
	v_fma_f64 v[14:15], v[34:35], v[2:3], v[12:13]
	v_fma_f64 v[26:27], -v[36:37], v[2:3], v[22:23]
	v_fma_f64 v[28:29], v[34:35], v[2:3], -v[12:13]
	v_fma_f64 v[12:13], -v[34:35], v[0:1], v[38:39]
	v_fmac_f64_e32 v[14:15], v[36:37], v[0:1]
	v_fmac_f64_e32 v[26:27], v[34:35], v[0:1]
	;; [unrolled: 1-line block ×3, first 2 shown]
	ds_write_b128 v178, v[12:15] offset:4160
	ds_write_b128 v24, v[26:29] offset:15808
	v_add_co_u32_e32 v26, vcc, s2, v20
	ds_read_b128 v[0:3], v178 offset:4992
	ds_read_b128 v[12:15], v24 offset:14976
	v_addc_co_u32_e32 v27, vcc, 0, v21, vcc
	global_load_dwordx4 v[20:23], v[26:27], off offset:128
	s_movk_i32 s2, 0x7c
	s_waitcnt lgkmcnt(0)
	v_add_f64 v[28:29], v[0:1], v[12:13]
	v_add_f64 v[34:35], v[14:15], v[2:3]
	v_add_f64 v[36:37], v[0:1], -v[12:13]
	v_add_f64 v[0:1], v[2:3], -v[14:15]
	s_waitcnt vmcnt(4)
	v_fma_f64 v[38:39], v[36:37], v[6:7], v[28:29]
	v_fma_f64 v[2:3], v[34:35], v[6:7], v[0:1]
	v_fma_f64 v[12:13], -v[36:37], v[6:7], v[28:29]
	v_fma_f64 v[14:15], v[34:35], v[6:7], -v[0:1]
	v_fma_f64 v[0:1], -v[34:35], v[4:5], v[38:39]
	v_fmac_f64_e32 v[2:3], v[36:37], v[4:5]
	v_fmac_f64_e32 v[12:13], v[34:35], v[4:5]
	;; [unrolled: 1-line block ×3, first 2 shown]
	ds_write_b128 v178, v[0:3] offset:4992
	ds_write_b128 v24, v[12:15] offset:14976
	ds_read_b128 v[0:3], v178 offset:5824
	ds_read_b128 v[4:7], v24 offset:14144
	global_load_dwordx4 v[12:15], v[26:27], off offset:960
	v_cmp_gt_u32_e32 vcc, 44, v154
	s_waitcnt lgkmcnt(0)
	v_add_f64 v[26:27], v[0:1], v[4:5]
	v_add_f64 v[28:29], v[6:7], v[2:3]
	v_add_f64 v[34:35], v[0:1], -v[4:5]
	v_add_f64 v[0:1], v[2:3], -v[6:7]
	s_waitcnt vmcnt(4)
	v_fma_f64 v[36:37], v[34:35], v[10:11], v[26:27]
	v_fma_f64 v[2:3], v[28:29], v[10:11], v[0:1]
	v_fma_f64 v[4:5], -v[34:35], v[10:11], v[26:27]
	v_fma_f64 v[6:7], v[28:29], v[10:11], -v[0:1]
	v_fma_f64 v[0:1], -v[28:29], v[8:9], v[36:37]
	v_fmac_f64_e32 v[2:3], v[34:35], v[8:9]
	v_fmac_f64_e32 v[4:5], v[28:29], v[8:9]
	v_fmac_f64_e32 v[6:7], v[34:35], v[8:9]
	ds_write_b128 v178, v[0:3] offset:5824
	ds_write_b128 v24, v[4:7] offset:14144
	ds_read_b128 v[0:3], v178 offset:6656
	ds_read_b128 v[4:7], v24 offset:13312
	s_waitcnt lgkmcnt(0)
	v_add_f64 v[8:9], v[0:1], v[4:5]
	v_add_f64 v[10:11], v[6:7], v[2:3]
	v_add_f64 v[26:27], v[0:1], -v[4:5]
	v_add_f64 v[6:7], v[2:3], -v[6:7]
	s_waitcnt vmcnt(3)
	v_fma_f64 v[0:1], v[26:27], v[18:19], v[8:9]
	v_fma_f64 v[2:3], v[10:11], v[18:19], v[6:7]
	v_fma_f64 v[4:5], -v[26:27], v[18:19], v[8:9]
	v_fma_f64 v[6:7], v[10:11], v[18:19], -v[6:7]
	v_fma_f64 v[0:1], -v[10:11], v[16:17], v[0:1]
	v_fmac_f64_e32 v[2:3], v[26:27], v[16:17]
	v_fmac_f64_e32 v[4:5], v[10:11], v[16:17]
	;; [unrolled: 1-line block ×3, first 2 shown]
	ds_write_b128 v178, v[0:3] offset:6656
	ds_write_b128 v24, v[4:7] offset:13312
	ds_read_b128 v[0:3], v178 offset:7488
	ds_read_b128 v[4:7], v24 offset:12480
	s_waitcnt lgkmcnt(0)
	v_add_f64 v[8:9], v[0:1], v[4:5]
	v_add_f64 v[10:11], v[6:7], v[2:3]
	v_add_f64 v[4:5], v[0:1], -v[4:5]
	v_add_f64 v[6:7], v[2:3], -v[6:7]
	s_waitcnt vmcnt(2)
	v_fma_f64 v[0:1], v[4:5], v[32:33], v[8:9]
	v_fma_f64 v[2:3], v[10:11], v[32:33], v[6:7]
	v_fma_f64 v[0:1], -v[10:11], v[30:31], v[0:1]
	v_fmac_f64_e32 v[2:3], v[4:5], v[30:31]
	ds_write_b128 v178, v[0:3] offset:7488
	v_fma_f64 v[0:1], -v[4:5], v[32:33], v[8:9]
	v_fma_f64 v[2:3], v[10:11], v[32:33], -v[6:7]
	v_fmac_f64_e32 v[0:1], v[10:11], v[30:31]
	v_fmac_f64_e32 v[2:3], v[4:5], v[30:31]
	ds_write_b128 v24, v[0:3] offset:12480
	ds_read_b128 v[0:3], v178 offset:8320
	ds_read_b128 v[4:7], v24 offset:11648
	s_waitcnt lgkmcnt(0)
	v_add_f64 v[8:9], v[0:1], v[4:5]
	v_add_f64 v[10:11], v[6:7], v[2:3]
	v_add_f64 v[4:5], v[0:1], -v[4:5]
	v_add_f64 v[6:7], v[2:3], -v[6:7]
	s_waitcnt vmcnt(1)
	v_fma_f64 v[0:1], v[4:5], v[22:23], v[8:9]
	v_fma_f64 v[2:3], v[10:11], v[22:23], v[6:7]
	v_fma_f64 v[0:1], -v[10:11], v[20:21], v[0:1]
	v_fmac_f64_e32 v[2:3], v[4:5], v[20:21]
	ds_write_b128 v178, v[0:3] offset:8320
	v_fma_f64 v[0:1], -v[4:5], v[22:23], v[8:9]
	v_fma_f64 v[2:3], v[10:11], v[22:23], -v[6:7]
	v_fmac_f64_e32 v[0:1], v[10:11], v[20:21]
	v_fmac_f64_e32 v[2:3], v[4:5], v[20:21]
	;; [unrolled: 18-line block ×3, first 2 shown]
	ds_write_b128 v24, v[0:3] offset:10816
	s_waitcnt lgkmcnt(0)
	; wave barrier
	s_waitcnt lgkmcnt(0)
	s_waitcnt lgkmcnt(0)
	; wave barrier
	s_waitcnt lgkmcnt(0)
	ds_read_b128 v[40:43], v178
	ds_read_b128 v[0:3], v178 offset:832
	ds_read_b128 v[44:47], v178 offset:9984
	;; [unrolled: 1-line block ×11, first 2 shown]
	s_waitcnt lgkmcnt(9)
	v_add_f64 v[56:57], v[40:41], -v[44:45]
	v_add_f64 v[58:59], v[42:43], -v[46:47]
	v_fma_f64 v[60:61], v[40:41], 2.0, -v[56:57]
	v_fma_f64 v[62:63], v[42:43], 2.0, -v[58:59]
	s_waitcnt lgkmcnt(8)
	v_add_f64 v[20:21], v[0:1], -v[20:21]
	v_add_f64 v[22:23], v[2:3], -v[22:23]
	ds_read_b128 v[64:67], v178 offset:4992
	ds_read_b128 v[68:71], v178 offset:5824
	;; [unrolled: 1-line block ×12, first 2 shown]
	s_waitcnt lgkmcnt(0)
	; wave barrier
	s_waitcnt lgkmcnt(0)
	ds_write_b128 v96, v[60:63]
	ds_write_b128 v96, v[56:59] offset:16
	v_fma_f64 v[0:1], v[0:1], 2.0, -v[20:21]
	v_fma_f64 v[2:3], v[2:3], 2.0, -v[22:23]
	v_lshl_add_u32 v56, v187, 5, 0
	ds_write_b128 v56, v[0:3]
	ds_write_b128 v56, v[20:23] offset:16
	v_add_f64 v[0:1], v[4:5], -v[32:33]
	v_add_f64 v[2:3], v[6:7], -v[34:35]
	v_fma_f64 v[4:5], v[4:5], 2.0, -v[0:1]
	v_fma_f64 v[6:7], v[6:7], 2.0, -v[2:3]
	v_lshl_add_u32 v20, v186, 5, 0
	ds_write_b128 v20, v[4:7]
	ds_write_b128 v20, v[0:3] offset:16
	v_add_f64 v[0:1], v[8:9], -v[24:25]
	v_add_f64 v[2:3], v[10:11], -v[26:27]
	;; [unrolled: 7-line block ×4, first 2 shown]
	v_fma_f64 v[4:5], v[16:17], 2.0, -v[0:1]
	v_fma_f64 v[6:7], v[18:19], 2.0, -v[2:3]
	v_lshl_add_u32 v8, v180, 5, 0
	v_add_f64 v[24:25], v[48:49], -v[88:89]
	ds_write_b128 v8, v[4:7]
	ds_write_b128 v8, v[0:3] offset:16
	v_add_f64 v[0:1], v[64:65], -v[72:73]
	v_add_f64 v[2:3], v[66:67], -v[74:75]
	;; [unrolled: 1-line block ×4, first 2 shown]
	v_fma_f64 v[28:29], v[48:49], 2.0, -v[24:25]
	v_lshl_add_u32 v48, v181, 5, 0
	v_fma_f64 v[4:5], v[64:65], 2.0, -v[0:1]
	v_fma_f64 v[6:7], v[66:67], 2.0, -v[2:3]
	;; [unrolled: 1-line block ×4, first 2 shown]
	v_add_f64 v[16:17], v[80:81], -v[84:85]
	v_add_f64 v[18:19], v[82:83], -v[86:87]
	ds_write_b128 v48, v[0:3] offset:16
	v_lshl_add_u32 v0, v179, 5, 0
	v_fma_f64 v[20:21], v[80:81], 2.0, -v[16:17]
	v_fma_f64 v[22:23], v[82:83], 2.0, -v[18:19]
	v_add_f64 v[26:27], v[50:51], -v[90:91]
	ds_write_b128 v48, v[4:7]
	ds_write_b128 v0, v[12:15]
	ds_write_b128 v0, v[8:11] offset:16
	v_lshl_add_u32 v0, v184, 5, 0
	v_fma_f64 v[30:31], v[50:51], 2.0, -v[26:27]
	v_add_f64 v[32:33], v[44:45], -v[92:93]
	v_add_f64 v[34:35], v[46:47], -v[94:95]
	ds_write_b128 v0, v[20:23]
	ds_write_b128 v0, v[16:19] offset:16
	v_lshl_add_u32 v0, v183, 5, 0
	v_fma_f64 v[36:37], v[44:45], 2.0, -v[32:33]
	v_fma_f64 v[38:39], v[46:47], 2.0, -v[34:35]
	v_add_f64 v[44:45], v[40:41], -v[52:53]
	v_add_f64 v[46:47], v[42:43], -v[54:55]
	ds_write_b128 v0, v[28:31]
	ds_write_b128 v0, v[24:27] offset:16
	v_lshl_add_u32 v0, v161, 5, 0
	v_fma_f64 v[40:41], v[40:41], 2.0, -v[44:45]
	v_fma_f64 v[42:43], v[42:43], 2.0, -v[46:47]
	ds_write_b128 v0, v[36:39]
	ds_write_b128 v0, v[32:35] offset:16
	v_lshl_add_u32 v0, v157, 5, 0
	v_and_b32_e32 v96, 1, v154
	ds_write_b128 v0, v[40:43]
	ds_write_b128 v0, v[44:47] offset:16
	v_lshlrev_b32_e32 v0, 4, v96
	s_waitcnt lgkmcnt(0)
	; wave barrier
	s_waitcnt lgkmcnt(0)
	global_load_dwordx4 v[12:15], v0, s[4:5]
	ds_read_b128 v[0:3], v178 offset:9984
	ds_read_b128 v[4:7], v178 offset:10816
	;; [unrolled: 1-line block ×8, first 2 shown]
	v_and_or_b32 v97, v156, s2, v96
	v_lshl_add_u32 v97, v97, 4, 0
	s_movk_i32 s2, 0xfc
	ds_read_b128 v[52:55], v178 offset:832
	s_waitcnt vmcnt(0) lgkmcnt(8)
	v_mul_f64 v[36:37], v[2:3], v[14:15]
	v_fma_f64 v[36:37], v[0:1], v[12:13], -v[36:37]
	v_mul_f64 v[38:39], v[0:1], v[14:15]
	s_waitcnt lgkmcnt(7)
	v_mul_f64 v[0:1], v[6:7], v[14:15]
	v_fma_f64 v[88:89], v[4:5], v[12:13], -v[0:1]
	s_waitcnt lgkmcnt(6)
	v_mul_f64 v[0:1], v[10:11], v[14:15]
	v_fma_f64 v[92:93], v[8:9], v[12:13], -v[0:1]
	;; [unrolled: 3-line block ×3, first 2 shown]
	v_mul_f64 v[50:51], v[16:17], v[14:15]
	s_waitcnt lgkmcnt(4)
	v_mul_f64 v[0:1], v[22:23], v[14:15]
	v_fmac_f64_e32 v[50:51], v[18:19], v[12:13]
	v_fma_f64 v[40:41], v[20:21], v[12:13], -v[0:1]
	v_mul_f64 v[42:43], v[20:21], v[14:15]
	ds_read_b128 v[18:21], v178 offset:16640
	v_mul_f64 v[94:95], v[8:9], v[14:15]
	s_waitcnt lgkmcnt(4)
	v_mul_f64 v[0:1], v[26:27], v[14:15]
	v_fmac_f64_e32 v[94:95], v[10:11], v[12:13]
	v_fma_f64 v[8:9], v[24:25], v[12:13], -v[0:1]
	v_mul_f64 v[10:11], v[24:25], v[14:15]
	s_waitcnt lgkmcnt(3)
	v_mul_f64 v[0:1], v[30:31], v[14:15]
	v_fmac_f64_e32 v[38:39], v[2:3], v[12:13]
	v_fmac_f64_e32 v[10:11], v[26:27], v[12:13]
	v_fma_f64 v[0:1], v[28:29], v[12:13], -v[0:1]
	v_mul_f64 v[2:3], v[28:29], v[14:15]
	ds_read_b128 v[26:29], v178 offset:17472
	s_waitcnt lgkmcnt(1)
	v_mul_f64 v[16:17], v[20:21], v[14:15]
	v_fma_f64 v[16:17], v[18:19], v[12:13], -v[16:17]
	v_mul_f64 v[18:19], v[18:19], v[14:15]
	v_fmac_f64_e32 v[42:43], v[22:23], v[12:13]
	v_fmac_f64_e32 v[18:19], v[20:21], v[12:13]
	ds_read_b128 v[20:23], v178 offset:18304
	v_mul_f64 v[90:91], v[4:5], v[14:15]
	s_waitcnt lgkmcnt(1)
	v_mul_f64 v[24:25], v[28:29], v[14:15]
	v_fmac_f64_e32 v[90:91], v[6:7], v[12:13]
	v_mul_f64 v[4:5], v[34:35], v[14:15]
	v_mul_f64 v[6:7], v[32:33], v[14:15]
	v_fma_f64 v[24:25], v[26:27], v[12:13], -v[24:25]
	v_mul_f64 v[26:27], v[26:27], v[14:15]
	v_fmac_f64_e32 v[2:3], v[30:31], v[12:13]
	v_fma_f64 v[4:5], v[32:33], v[12:13], -v[4:5]
	v_fmac_f64_e32 v[6:7], v[34:35], v[12:13]
	v_fmac_f64_e32 v[26:27], v[28:29], v[12:13]
	ds_read_b128 v[28:31], v178 offset:19136
	s_waitcnt lgkmcnt(1)
	v_mul_f64 v[32:33], v[22:23], v[14:15]
	v_mul_f64 v[34:35], v[20:21], v[14:15]
	v_fma_f64 v[32:33], v[20:21], v[12:13], -v[32:33]
	v_fmac_f64_e32 v[34:35], v[22:23], v[12:13]
	ds_read_b128 v[20:23], v178
	s_waitcnt lgkmcnt(1)
	v_mul_f64 v[44:45], v[30:31], v[14:15]
	v_mul_f64 v[46:47], v[28:29], v[14:15]
	v_fma_f64 v[44:45], v[28:29], v[12:13], -v[44:45]
	v_fmac_f64_e32 v[46:47], v[30:31], v[12:13]
	s_waitcnt lgkmcnt(0)
	v_add_f64 v[56:57], v[20:21], -v[36:37]
	v_add_f64 v[58:59], v[22:23], -v[38:39]
	v_fma_f64 v[60:61], v[20:21], 2.0, -v[56:57]
	v_fma_f64 v[62:63], v[22:23], 2.0, -v[58:59]
	ds_read_b128 v[64:67], v178 offset:1664
	ds_read_b128 v[68:71], v178 offset:2496
	;; [unrolled: 1-line block ×10, first 2 shown]
	s_waitcnt lgkmcnt(0)
	; wave barrier
	s_waitcnt lgkmcnt(0)
	ds_write_b128 v97, v[60:63]
	ds_write_b128 v97, v[56:59] offset:32
	v_add_f64 v[56:57], v[52:53], -v[88:89]
	v_add_f64 v[58:59], v[54:55], -v[90:91]
	v_and_or_b32 v60, v160, s2, v96
	v_fma_f64 v[52:53], v[52:53], 2.0, -v[56:57]
	v_fma_f64 v[54:55], v[54:55], 2.0, -v[58:59]
	v_lshl_add_u32 v60, v60, 4, 0
	ds_write_b128 v60, v[52:55]
	ds_write_b128 v60, v[56:59] offset:32
	s_movk_i32 s2, 0x1fc
	v_lshlrev_b32_e32 v60, 1, v186
	v_add_f64 v[52:53], v[64:65], -v[92:93]
	v_add_f64 v[54:55], v[66:67], -v[94:95]
	v_and_or_b32 v60, v60, s2, v96
	v_fma_f64 v[56:57], v[64:65], 2.0, -v[52:53]
	v_fma_f64 v[58:59], v[66:67], 2.0, -v[54:55]
	v_lshl_add_u32 v60, v60, 4, 0
	ds_write_b128 v60, v[56:59]
	ds_write_b128 v60, v[52:55] offset:32
	v_lshlrev_b32_e32 v56, 1, v185
	v_add_f64 v[48:49], v[68:69], -v[48:49]
	v_add_f64 v[50:51], v[70:71], -v[50:51]
	v_and_or_b32 v56, v56, s2, v96
	v_fma_f64 v[52:53], v[68:69], 2.0, -v[48:49]
	v_fma_f64 v[54:55], v[70:71], 2.0, -v[50:51]
	v_lshl_add_u32 v56, v56, 4, 0
	ds_write_b128 v56, v[52:55]
	ds_write_b128 v56, v[48:51] offset:32
	s_movk_i32 s2, 0x3fc
	v_lshlrev_b32_e32 v52, 1, v182
	v_add_f64 v[40:41], v[72:73], -v[40:41]
	v_add_f64 v[42:43], v[74:75], -v[42:43]
	v_and_or_b32 v52, v52, s2, v96
	v_fma_f64 v[48:49], v[72:73], 2.0, -v[40:41]
	v_fma_f64 v[50:51], v[74:75], 2.0, -v[42:43]
	v_lshl_add_u32 v52, v52, 4, 0
	ds_write_b128 v52, v[48:51]
	ds_write_b128 v52, v[40:43] offset:32
	v_lshlrev_b32_e32 v48, 1, v180
	v_add_f64 v[8:9], v[76:77], -v[8:9]
	v_add_f64 v[10:11], v[78:79], -v[10:11]
	v_and_or_b32 v48, v48, s3, v96
	v_fma_f64 v[40:41], v[76:77], 2.0, -v[8:9]
	v_fma_f64 v[42:43], v[78:79], 2.0, -v[10:11]
	v_lshl_add_u32 v48, v48, 4, 0
	v_add_f64 v[32:33], v[28:29], -v[32:33]
	ds_write_b128 v48, v[40:43]
	ds_write_b128 v48, v[8:11] offset:32
	v_fma_f64 v[40:41], v[28:29], 2.0, -v[32:33]
	v_add_f64 v[28:29], v[36:37], -v[44:45]
	v_lshlrev_b32_e32 v44, 1, v181
	v_add_f64 v[0:1], v[80:81], -v[0:1]
	v_add_f64 v[2:3], v[82:83], -v[2:3]
	v_and_or_b32 v44, v44, s3, v96
	v_fma_f64 v[48:49], v[80:81], 2.0, -v[0:1]
	v_fma_f64 v[50:51], v[82:83], 2.0, -v[2:3]
	v_lshl_add_u32 v44, v44, 4, 0
	ds_write_b128 v44, v[48:51]
	ds_write_b128 v44, v[0:3] offset:32
	v_lshlrev_b32_e32 v44, 1, v179
	v_add_f64 v[8:9], v[84:85], -v[4:5]
	v_add_f64 v[10:11], v[86:87], -v[6:7]
	v_and_or_b32 v44, v44, s2, v96
	v_fma_f64 v[4:5], v[84:85], 2.0, -v[8:9]
	v_fma_f64 v[6:7], v[86:87], 2.0, -v[10:11]
	v_lshl_add_u32 v44, v44, 4, 0
	ds_write_b128 v44, v[4:7]
	ds_write_b128 v44, v[8:11] offset:32
	;; [unrolled: 9-line block ×3, first 2 shown]
	s_movk_i32 s2, 0x7fc
	v_lshlrev_b32_e32 v44, 1, v183
	v_add_f64 v[24:25], v[20:21], -v[24:25]
	v_add_f64 v[26:27], v[22:23], -v[26:27]
	v_and_or_b32 v44, v44, s2, v96
	v_fma_f64 v[20:21], v[20:21], 2.0, -v[24:25]
	v_fma_f64 v[22:23], v[22:23], 2.0, -v[26:27]
	v_lshl_add_u32 v44, v44, 4, 0
	ds_write_b128 v44, v[20:23]
	ds_write_b128 v44, v[24:27] offset:32
	s_movk_i32 s2, 0x4fc
	v_lshlrev_b32_e32 v44, 1, v161
	v_add_f64 v[34:35], v[30:31], -v[34:35]
	v_and_or_b32 v44, v44, s2, v96
	v_fma_f64 v[42:43], v[30:31], 2.0, -v[34:35]
	v_lshl_add_u32 v44, v44, 4, 0
	ds_write_b128 v44, v[40:43]
	ds_write_b128 v44, v[32:35] offset:32
	v_lshlrev_b32_e32 v44, 1, v157
	v_add_f64 v[30:31], v[38:39], -v[46:47]
	v_and_or_b32 v44, v44, s2, v96
	v_fma_f64 v[36:37], v[36:37], 2.0, -v[28:29]
	v_fma_f64 v[38:39], v[38:39], 2.0, -v[30:31]
	v_lshl_add_u32 v44, v44, 4, 0
	ds_write_b128 v44, v[36:39]
	ds_write_b128 v44, v[28:31] offset:32
	s_waitcnt lgkmcnt(0)
	; wave barrier
	s_waitcnt lgkmcnt(0)
	ds_read_b128 v[100:103], v178
	ds_read_b128 v[148:151], v178 offset:1536
	ds_read_b128 v[144:147], v178 offset:3072
	;; [unrolled: 1-line block ×12, first 2 shown]
                                        ; implicit-def: $vgpr46_vgpr47
                                        ; implicit-def: $vgpr50_vgpr51
	s_and_saveexec_b64 s[2:3], vcc
	s_cbranch_execz .LBB0_19
; %bb.18:
	ds_read_b128 v[0:3], v178 offset:832
	ds_read_b128 v[4:7], v178 offset:2368
	;; [unrolled: 1-line block ×13, first 2 shown]
.LBB0_19:
	s_or_b64 exec, exec, s[2:3]
	v_and_b32_e32 v188, 3, v154
	v_mul_u32_u24_e32 v52, 12, v188
	v_lshlrev_b32_e32 v76, 4, v52
	global_load_dwordx4 v[52:55], v76, s[4:5] offset:32
	global_load_dwordx4 v[56:59], v76, s[4:5] offset:48
	;; [unrolled: 1-line block ×11, first 2 shown]
	s_nop 0
	global_load_dwordx4 v[76:79], v76, s[4:5] offset:208
	s_mov_b32 s6, 0x4267c47c
	s_mov_b32 s10, 0x42a4c3d2
	;; [unrolled: 1-line block ×36, first 2 shown]
	s_waitcnt lgkmcnt(0)
	; wave barrier
	s_waitcnt vmcnt(11) lgkmcnt(0)
	v_mul_f64 v[190:191], v[150:151], v[54:55]
	v_mul_f64 v[192:193], v[148:149], v[54:55]
	s_waitcnt vmcnt(10)
	v_mul_f64 v[194:195], v[146:147], v[58:59]
	v_mul_f64 v[196:197], v[144:145], v[58:59]
	v_fma_f64 v[148:149], v[148:149], v[52:53], -v[190:191]
	v_fmac_f64_e32 v[192:193], v[150:151], v[52:53]
	s_waitcnt vmcnt(9)
	v_mul_f64 v[198:199], v[142:143], v[62:63]
	v_mul_f64 v[174:175], v[140:141], v[62:63]
	v_fma_f64 v[144:145], v[144:145], v[56:57], -v[194:195]
	v_fmac_f64_e32 v[196:197], v[146:147], v[56:57]
	s_waitcnt vmcnt(1)
	v_mul_f64 v[216:217], v[108:109], v[90:91]
	s_waitcnt vmcnt(0)
	v_mul_f64 v[220:221], v[104:105], v[78:79]
	v_mul_f64 v[214:215], v[110:111], v[90:91]
	;; [unrolled: 1-line block ×3, first 2 shown]
	v_fmac_f64_e32 v[216:217], v[110:111], v[88:89]
	v_fmac_f64_e32 v[220:221], v[106:107], v[76:77]
	v_add_f64 v[106:107], v[100:101], v[148:149]
	v_add_f64 v[110:111], v[102:103], v[192:193]
	v_mul_f64 v[200:201], v[138:139], v[66:67]
	v_mul_f64 v[170:171], v[136:137], v[66:67]
	v_fma_f64 v[140:141], v[140:141], v[60:61], -v[198:199]
	v_fmac_f64_e32 v[174:175], v[142:143], v[60:61]
	v_add_f64 v[106:107], v[106:107], v[144:145]
	v_add_f64 v[110:111], v[110:111], v[196:197]
	v_mul_f64 v[202:203], v[134:135], v[70:71]
	v_mul_f64 v[166:167], v[132:133], v[70:71]
	v_fma_f64 v[136:137], v[136:137], v[64:65], -v[200:201]
	;; [unrolled: 6-line block ×7, first 2 shown]
	v_fmac_f64_e32 v[172:173], v[118:119], v[96:97]
	v_add_f64 v[106:107], v[106:107], v[120:121]
	v_add_f64 v[110:111], v[110:111], v[168:169]
	v_fma_f64 v[112:113], v[112:113], v[92:93], -v[212:213]
	v_fmac_f64_e32 v[176:177], v[114:115], v[92:93]
	v_add_f64 v[106:107], v[106:107], v[116:117]
	v_add_f64 v[110:111], v[110:111], v[172:173]
	v_fma_f64 v[108:109], v[108:109], v[88:89], -v[214:215]
	v_add_f64 v[106:107], v[106:107], v[112:113]
	v_add_f64 v[110:111], v[110:111], v[176:177]
	v_fma_f64 v[104:105], v[104:105], v[76:77], -v[218:219]
	v_add_f64 v[126:127], v[192:193], -v[220:221]
	v_add_f64 v[106:107], v[106:107], v[108:109]
	v_add_f64 v[110:111], v[110:111], v[216:217]
	;; [unrolled: 1-line block ×3, first 2 shown]
	v_add_f64 v[122:123], v[148:149], -v[104:105]
	v_mul_f64 v[130:131], v[126:127], s[6:7]
	v_add_f64 v[104:105], v[106:107], v[104:105]
	v_add_f64 v[106:107], v[110:111], v[220:221]
	v_mul_f64 v[110:111], v[126:127], s[10:11]
	v_mul_f64 v[142:143], v[126:127], s[14:15]
	v_mul_f64 v[148:149], v[126:127], s[18:19]
	v_mul_f64 v[190:191], v[126:127], s[22:23]
	v_mul_f64 v[126:127], v[126:127], s[26:27]
	v_add_f64 v[118:119], v[192:193], v[220:221]
	v_fma_f64 v[134:135], v[114:115], s[2:3], -v[130:131]
	v_fmac_f64_e32 v[130:131], s[2:3], v[114:115]
	v_fma_f64 v[138:139], v[114:115], s[8:9], -v[110:111]
	v_fmac_f64_e32 v[110:111], s[8:9], v[114:115]
	;; [unrolled: 2-line block ×6, first 2 shown]
	v_mul_f64 v[114:115], v[122:123], s[6:7]
	v_mul_f64 v[200:201], v[122:123], s[10:11]
	;; [unrolled: 1-line block ×6, first 2 shown]
	v_fma_f64 v[198:199], s[2:3], v[118:119], v[114:115]
	v_fma_f64 v[114:115], v[118:119], s[2:3], -v[114:115]
	v_fma_f64 v[202:203], s[8:9], v[118:119], v[200:201]
	v_fma_f64 v[200:201], v[118:119], s[8:9], -v[200:201]
	;; [unrolled: 2-line block ×6, first 2 shown]
	v_add_f64 v[122:123], v[100:101], v[134:135]
	v_add_f64 v[134:135], v[102:103], v[198:199]
	;; [unrolled: 1-line block ×14, first 2 shown]
	v_add_f64 v[108:109], v[144:145], -v[108:109]
	v_add_f64 v[144:145], v[196:197], -v[216:217]
	v_add_f64 v[130:131], v[100:101], v[130:131]
	v_add_f64 v[138:139], v[100:101], v[138:139]
	;; [unrolled: 1-line block ×12, first 2 shown]
	v_mul_f64 v[196:197], v[144:145], s[10:11]
	v_fma_f64 v[216:217], v[118:119], s[8:9], -v[196:197]
	v_add_f64 v[122:123], v[216:217], v[122:123]
	v_mul_f64 v[216:217], v[108:109], s[10:11]
	v_fmac_f64_e32 v[196:197], s[8:9], v[118:119]
	v_add_f64 v[130:131], v[196:197], v[130:131]
	v_fma_f64 v[196:197], v[126:127], s[8:9], -v[216:217]
	v_add_f64 v[114:115], v[196:197], v[114:115]
	v_mul_f64 v[196:197], v[144:145], s[18:19]
	v_fma_f64 v[218:219], s[8:9], v[126:127], v[216:217]
	v_fma_f64 v[216:217], v[118:119], s[16:17], -v[196:197]
	v_add_f64 v[138:139], v[216:217], v[138:139]
	v_mul_f64 v[216:217], v[108:109], s[18:19]
	v_fmac_f64_e32 v[196:197], s[16:17], v[118:119]
	v_add_f64 v[110:111], v[196:197], v[110:111]
	v_fma_f64 v[196:197], v[126:127], s[16:17], -v[216:217]
	v_add_f64 v[196:197], v[196:197], v[200:201]
	v_mul_f64 v[200:201], v[144:145], s[26:27]
	v_add_f64 v[134:135], v[218:219], v[134:135]
	v_fma_f64 v[218:219], s[16:17], v[126:127], v[216:217]
	v_fma_f64 v[216:217], v[118:119], s[24:25], -v[200:201]
	v_add_f64 v[146:147], v[216:217], v[146:147]
	v_mul_f64 v[216:217], v[108:109], s[26:27]
	v_fmac_f64_e32 v[200:201], s[24:25], v[118:119]
	v_add_f64 v[142:143], v[200:201], v[142:143]
	v_fma_f64 v[200:201], v[126:127], s[24:25], -v[216:217]
	v_add_f64 v[200:201], v[200:201], v[204:205]
	v_mul_f64 v[204:205], v[144:145], s[28:29]
	v_add_f64 v[198:199], v[218:219], v[198:199]
	;; [unrolled: 10-line block ×3, first 2 shown]
	v_fma_f64 v[218:219], s[20:21], v[126:127], v[216:217]
	v_fma_f64 v[216:217], v[118:119], s[12:13], -v[208:209]
	v_add_f64 v[192:193], v[216:217], v[192:193]
	v_mul_f64 v[216:217], v[108:109], s[30:31]
	v_fmac_f64_e32 v[208:209], s[12:13], v[118:119]
	v_add_f64 v[190:191], v[208:209], v[190:191]
	v_fma_f64 v[208:209], v[126:127], s[12:13], -v[216:217]
	v_mul_f64 v[144:145], v[144:145], s[34:35]
	v_add_f64 v[208:209], v[208:209], v[212:213]
	v_fma_f64 v[212:213], v[118:119], s[2:3], -v[144:145]
	v_mul_f64 v[108:109], v[108:109], s[34:35]
	v_add_f64 v[206:207], v[218:219], v[206:207]
	v_fma_f64 v[218:219], s[12:13], v[126:127], v[216:217]
	v_add_f64 v[194:195], v[212:213], v[194:195]
	v_fma_f64 v[212:213], s[2:3], v[126:127], v[108:109]
	v_fma_f64 v[108:109], v[126:127], s[2:3], -v[108:109]
	v_add_f64 v[126:127], v[174:175], -v[176:177]
	v_fmac_f64_e32 v[144:145], s[2:3], v[118:119]
	v_add_f64 v[102:103], v[108:109], v[102:103]
	v_add_f64 v[108:109], v[140:141], v[112:113]
	v_add_f64 v[112:113], v[140:141], -v[112:113]
	v_mul_f64 v[140:141], v[126:127], s[14:15]
	v_add_f64 v[100:101], v[144:145], v[100:101]
	v_fma_f64 v[144:145], v[108:109], s[12:13], -v[140:141]
	v_add_f64 v[118:119], v[174:175], v[176:177]
	v_add_f64 v[122:123], v[144:145], v[122:123]
	v_mul_f64 v[144:145], v[112:113], s[14:15]
	v_fmac_f64_e32 v[140:141], s[12:13], v[108:109]
	v_add_f64 v[130:131], v[140:141], v[130:131]
	v_fma_f64 v[140:141], v[118:119], s[12:13], -v[144:145]
	v_add_f64 v[114:115], v[140:141], v[114:115]
	v_mul_f64 v[140:141], v[126:127], s[26:27]
	v_fma_f64 v[174:175], s[12:13], v[118:119], v[144:145]
	v_fma_f64 v[144:145], v[108:109], s[24:25], -v[140:141]
	v_add_f64 v[138:139], v[144:145], v[138:139]
	v_mul_f64 v[144:145], v[112:113], s[26:27]
	v_fmac_f64_e32 v[140:141], s[24:25], v[108:109]
	v_add_f64 v[134:135], v[174:175], v[134:135]
	v_fma_f64 v[174:175], s[24:25], v[118:119], v[144:145]
	v_add_f64 v[110:111], v[140:141], v[110:111]
	v_fma_f64 v[140:141], v[118:119], s[24:25], -v[144:145]
	v_mul_f64 v[144:145], v[126:127], s[36:37]
	v_fma_f64 v[176:177], v[108:109], s[16:17], -v[144:145]
	v_add_f64 v[146:147], v[176:177], v[146:147]
	v_mul_f64 v[176:177], v[112:113], s[36:37]
	v_fmac_f64_e32 v[144:145], s[16:17], v[108:109]
	v_add_f64 v[140:141], v[140:141], v[196:197]
	v_fma_f64 v[196:197], s[16:17], v[118:119], v[176:177]
	v_add_f64 v[142:143], v[144:145], v[142:143]
	v_fma_f64 v[144:145], v[118:119], s[16:17], -v[176:177]
	v_mul_f64 v[176:177], v[126:127], s[34:35]
	v_add_f64 v[174:175], v[174:175], v[198:199]
	v_fma_f64 v[198:199], v[108:109], s[2:3], -v[176:177]
	v_add_f64 v[150:151], v[198:199], v[150:151]
	v_mul_f64 v[198:199], v[112:113], s[34:35]
	v_fmac_f64_e32 v[176:177], s[2:3], v[108:109]
	v_add_f64 v[144:145], v[144:145], v[200:201]
	v_fma_f64 v[200:201], s[2:3], v[118:119], v[198:199]
	v_add_f64 v[148:149], v[176:177], v[148:149]
	v_fma_f64 v[176:177], v[118:119], s[2:3], -v[198:199]
	v_mul_f64 v[198:199], v[126:127], s[10:11]
	v_add_f64 v[196:197], v[196:197], v[202:203]
	v_fma_f64 v[202:203], v[108:109], s[8:9], -v[198:199]
	v_add_f64 v[192:193], v[202:203], v[192:193]
	v_mul_f64 v[202:203], v[112:113], s[10:11]
	v_fmac_f64_e32 v[198:199], s[8:9], v[108:109]
	v_mul_f64 v[126:127], v[126:127], s[22:23]
	v_add_f64 v[176:177], v[176:177], v[204:205]
	v_fma_f64 v[204:205], s[8:9], v[118:119], v[202:203]
	v_add_f64 v[190:191], v[198:199], v[190:191]
	v_fma_f64 v[198:199], v[118:119], s[8:9], -v[202:203]
	v_fma_f64 v[202:203], v[108:109], s[20:21], -v[126:127]
	v_mul_f64 v[112:113], v[112:113], s[22:23]
	v_add_f64 v[194:195], v[202:203], v[194:195]
	v_fma_f64 v[202:203], s[20:21], v[118:119], v[112:113]
	v_fmac_f64_e32 v[126:127], s[20:21], v[108:109]
	v_fma_f64 v[108:109], v[118:119], s[20:21], -v[112:113]
	v_add_f64 v[118:119], v[170:171], -v[172:173]
	v_add_f64 v[100:101], v[126:127], v[100:101]
	v_add_f64 v[102:103], v[108:109], v[102:103]
	;; [unrolled: 1-line block ×3, first 2 shown]
	v_mul_f64 v[126:127], v[118:119], s[18:19]
	v_add_f64 v[112:113], v[136:137], -v[116:117]
	v_fma_f64 v[136:137], v[108:109], s[16:17], -v[126:127]
	v_add_f64 v[116:117], v[170:171], v[172:173]
	v_add_f64 v[122:123], v[136:137], v[122:123]
	v_mul_f64 v[136:137], v[112:113], s[18:19]
	v_fmac_f64_e32 v[126:127], s[16:17], v[108:109]
	v_add_f64 v[126:127], v[126:127], v[130:131]
	v_fma_f64 v[130:131], v[116:117], s[16:17], -v[136:137]
	v_add_f64 v[114:115], v[130:131], v[114:115]
	v_mul_f64 v[130:131], v[118:119], s[28:29]
	v_fma_f64 v[170:171], s[16:17], v[116:117], v[136:137]
	v_fma_f64 v[136:137], v[108:109], s[20:21], -v[130:131]
	v_add_f64 v[136:137], v[136:137], v[138:139]
	v_mul_f64 v[138:139], v[112:113], s[28:29]
	v_fmac_f64_e32 v[130:131], s[20:21], v[108:109]
	v_add_f64 v[134:135], v[170:171], v[134:135]
	v_fma_f64 v[170:171], s[20:21], v[116:117], v[138:139]
	v_add_f64 v[110:111], v[130:131], v[110:111]
	v_fma_f64 v[130:131], v[116:117], s[20:21], -v[138:139]
	v_mul_f64 v[138:139], v[118:119], s[34:35]
	v_add_f64 v[130:131], v[130:131], v[140:141]
	v_fma_f64 v[140:141], v[108:109], s[2:3], -v[138:139]
	v_add_f64 v[140:141], v[140:141], v[146:147]
	v_mul_f64 v[146:147], v[112:113], s[34:35]
	v_fmac_f64_e32 v[138:139], s[2:3], v[108:109]
	v_add_f64 v[138:139], v[138:139], v[142:143]
	v_fma_f64 v[142:143], v[116:117], s[2:3], -v[146:147]
	v_add_f64 v[142:143], v[142:143], v[144:145]
	v_mul_f64 v[144:145], v[118:119], s[14:15]
	v_fma_f64 v[172:173], s[2:3], v[116:117], v[146:147]
	v_fma_f64 v[146:147], v[108:109], s[12:13], -v[144:145]
	v_add_f64 v[146:147], v[146:147], v[150:151]
	v_mul_f64 v[150:151], v[112:113], s[14:15]
	v_fmac_f64_e32 v[144:145], s[12:13], v[108:109]
	v_add_f64 v[170:171], v[170:171], v[174:175]
	v_fma_f64 v[174:175], s[12:13], v[116:117], v[150:151]
	v_add_f64 v[144:145], v[144:145], v[148:149]
	v_fma_f64 v[148:149], v[116:117], s[12:13], -v[150:151]
	v_mul_f64 v[150:151], v[118:119], s[38:39]
	v_add_f64 v[148:149], v[148:149], v[176:177]
	v_fma_f64 v[176:177], v[108:109], s[24:25], -v[150:151]
	v_add_f64 v[176:177], v[176:177], v[192:193]
	v_mul_f64 v[192:193], v[112:113], s[38:39]
	v_fmac_f64_e32 v[150:151], s[24:25], v[108:109]
	v_mul_f64 v[118:119], v[118:119], s[40:41]
	v_add_f64 v[172:173], v[172:173], v[196:197]
	v_fma_f64 v[196:197], s[24:25], v[116:117], v[192:193]
	v_add_f64 v[150:151], v[150:151], v[190:191]
	v_fma_f64 v[190:191], v[116:117], s[24:25], -v[192:193]
	v_fma_f64 v[192:193], v[108:109], s[8:9], -v[118:119]
	v_mul_f64 v[112:113], v[112:113], s[40:41]
	v_fmac_f64_e32 v[118:119], s[8:9], v[108:109]
	v_add_f64 v[100:101], v[118:119], v[100:101]
	v_fma_f64 v[108:109], v[116:117], s[8:9], -v[112:113]
	v_add_f64 v[118:119], v[166:167], -v[168:169]
	v_add_f64 v[192:193], v[192:193], v[194:195]
	v_fma_f64 v[194:195], s[8:9], v[116:117], v[112:113]
	v_add_f64 v[102:103], v[108:109], v[102:103]
	v_add_f64 v[108:109], v[132:133], v[120:121]
	v_add_f64 v[116:117], v[132:133], -v[120:121]
	v_mul_f64 v[120:121], v[118:119], s[22:23]
	v_fma_f64 v[132:133], v[108:109], s[20:21], -v[120:121]
	v_add_f64 v[112:113], v[166:167], v[168:169]
	v_add_f64 v[122:123], v[132:133], v[122:123]
	v_mul_f64 v[132:133], v[116:117], s[22:23]
	v_fmac_f64_e32 v[120:121], s[20:21], v[108:109]
	v_add_f64 v[120:121], v[120:121], v[126:127]
	v_fma_f64 v[126:127], v[112:113], s[20:21], -v[132:133]
	v_add_f64 v[114:115], v[126:127], v[114:115]
	v_mul_f64 v[126:127], v[118:119], s[30:31]
	v_fma_f64 v[166:167], s[20:21], v[112:113], v[132:133]
	v_fma_f64 v[132:133], v[108:109], s[12:13], -v[126:127]
	v_add_f64 v[132:133], v[132:133], v[136:137]
	v_mul_f64 v[136:137], v[116:117], s[30:31]
	v_fmac_f64_e32 v[126:127], s[12:13], v[108:109]
	v_add_f64 v[126:127], v[126:127], v[110:111]
	v_fma_f64 v[110:111], v[112:113], s[12:13], -v[136:137]
	v_add_f64 v[130:131], v[110:111], v[130:131]
	v_mul_f64 v[110:111], v[118:119], s[10:11]
	v_add_f64 v[134:135], v[166:167], v[134:135]
	v_fma_f64 v[166:167], s[12:13], v[112:113], v[136:137]
	v_fma_f64 v[136:137], v[108:109], s[8:9], -v[110:111]
	v_add_f64 v[136:137], v[136:137], v[140:141]
	v_mul_f64 v[140:141], v[116:117], s[10:11]
	v_fmac_f64_e32 v[110:111], s[8:9], v[108:109]
	v_add_f64 v[138:139], v[110:111], v[138:139]
	v_fma_f64 v[110:111], v[112:113], s[8:9], -v[140:141]
	v_fma_f64 v[168:169], s[8:9], v[112:113], v[140:141]
	v_add_f64 v[140:141], v[110:111], v[142:143]
	v_mul_f64 v[110:111], v[118:119], s[38:39]
	v_fma_f64 v[142:143], v[108:109], s[24:25], -v[110:111]
	v_add_f64 v[142:143], v[142:143], v[146:147]
	v_mul_f64 v[146:147], v[116:117], s[38:39]
	v_fmac_f64_e32 v[110:111], s[24:25], v[108:109]
	v_add_f64 v[144:145], v[110:111], v[144:145]
	v_fma_f64 v[110:111], v[112:113], s[24:25], -v[146:147]
	v_add_f64 v[166:167], v[166:167], v[170:171]
	v_fma_f64 v[170:171], s[24:25], v[112:113], v[146:147]
	v_add_f64 v[146:147], v[110:111], v[148:149]
	v_mul_f64 v[110:111], v[118:119], s[34:35]
	v_add_f64 v[200:201], v[200:201], v[206:207]
	v_add_f64 v[198:199], v[198:199], v[208:209]
	;; [unrolled: 1-line block ×3, first 2 shown]
	v_fma_f64 v[148:149], v[108:109], s[2:3], -v[110:111]
	v_mul_f64 v[172:173], v[116:117], s[34:35]
	v_fmac_f64_e32 v[110:111], s[2:3], v[108:109]
	v_add_f64 v[210:211], v[218:219], v[210:211]
	v_add_f64 v[174:175], v[174:175], v[200:201]
	;; [unrolled: 1-line block ×4, first 2 shown]
	v_fma_f64 v[110:111], v[112:113], s[2:3], -v[172:173]
	v_add_f64 v[204:205], v[204:205], v[210:211]
	v_add_f64 v[170:171], v[170:171], v[174:175]
	v_fma_f64 v[174:175], s[2:3], v[112:113], v[172:173]
	v_add_f64 v[172:173], v[110:111], v[190:191]
	v_mul_f64 v[110:111], v[118:119], s[18:19]
	v_add_f64 v[212:213], v[212:213], v[214:215]
	v_add_f64 v[196:197], v[196:197], v[204:205]
	v_fma_f64 v[118:119], v[108:109], s[16:17], -v[110:111]
	v_mul_f64 v[116:117], v[116:117], s[18:19]
	v_fmac_f64_e32 v[110:111], s[16:17], v[108:109]
	v_add_f64 v[198:199], v[162:163], v[164:165]
	v_add_f64 v[162:163], v[162:163], -v[164:165]
	v_add_f64 v[202:203], v[202:203], v[212:213]
	v_add_f64 v[148:149], v[148:149], v[176:177]
	;; [unrolled: 1-line block ×4, first 2 shown]
	v_fma_f64 v[118:119], s[16:17], v[112:113], v[116:117]
	v_add_f64 v[192:193], v[110:111], v[100:101]
	v_fma_f64 v[100:101], v[112:113], s[16:17], -v[116:117]
	v_add_f64 v[196:197], v[128:129], v[124:125]
	v_mul_f64 v[116:117], v[162:163], s[34:35]
	v_add_f64 v[194:195], v[194:195], v[202:203]
	v_add_f64 v[200:201], v[128:129], -v[124:125]
	v_mul_f64 v[108:109], v[162:163], s[26:27]
	v_fma_f64 v[112:113], v[196:197], s[2:3], -v[116:117]
	v_fmac_f64_e32 v[116:117], s[2:3], v[196:197]
	v_add_f64 v[190:191], v[118:119], v[194:195]
	v_add_f64 v[194:195], v[100:101], v[102:103]
	v_fma_f64 v[100:101], v[196:197], s[24:25], -v[108:109]
	v_add_f64 v[116:117], v[116:117], v[126:127]
	v_mul_f64 v[126:127], v[200:201], s[22:23]
	v_add_f64 v[100:101], v[100:101], v[122:123]
	v_fmac_f64_e32 v[108:109], s[24:25], v[196:197]
	v_mul_f64 v[124:125], v[162:163], s[22:23]
	v_fma_f64 v[122:123], s[20:21], v[198:199], v[126:127]
	v_fma_f64 v[126:127], v[198:199], s[20:21], -v[126:127]
	v_add_f64 v[108:109], v[108:109], v[120:121]
	v_fma_f64 v[120:121], v[196:197], s[20:21], -v[124:125]
	v_add_f64 v[126:127], v[126:127], v[140:141]
	v_mul_f64 v[140:141], v[162:163], s[18:19]
	v_mul_f64 v[110:111], v[200:201], s[26:27]
	v_add_f64 v[120:121], v[120:121], v[136:137]
	v_fma_f64 v[136:137], v[196:197], s[16:17], -v[140:141]
	v_fma_f64 v[102:103], s[24:25], v[198:199], v[110:111]
	v_fma_f64 v[110:111], v[198:199], s[24:25], -v[110:111]
	v_add_f64 v[112:113], v[112:113], v[132:133]
	v_mul_f64 v[118:119], v[200:201], s[34:35]
	v_mul_f64 v[132:133], v[162:163], s[40:41]
	v_add_f64 v[136:137], v[136:137], v[148:149]
	v_mul_f64 v[148:149], v[162:163], s[30:31]
	v_lshrrev_b32_e32 v162, 2, v154
	v_add_f64 v[102:103], v[102:103], v[134:135]
	v_add_f64 v[110:111], v[110:111], v[114:115]
	v_fma_f64 v[114:115], s[2:3], v[198:199], v[118:119]
	v_fma_f64 v[118:119], v[198:199], s[2:3], -v[118:119]
	v_fma_f64 v[128:129], v[196:197], s[8:9], -v[132:133]
	v_mul_f64 v[134:135], v[200:201], s[40:41]
	v_fmac_f64_e32 v[140:141], s[16:17], v[196:197]
	v_mul_u32_u24_e32 v162, 52, v162
	v_add_f64 v[118:119], v[118:119], v[130:131]
	v_fmac_f64_e32 v[124:125], s[20:21], v[196:197]
	v_add_f64 v[128:129], v[128:129], v[142:143]
	v_fma_f64 v[130:131], s[8:9], v[198:199], v[134:135]
	v_fmac_f64_e32 v[132:133], s[8:9], v[196:197]
	v_fma_f64 v[134:135], v[198:199], s[8:9], -v[134:135]
	v_mul_f64 v[142:143], v[200:201], s[18:19]
	v_add_f64 v[140:141], v[140:141], v[150:151]
	v_mul_f64 v[150:151], v[200:201], s[30:31]
	v_or_b32_e32 v162, v162, v188
	v_add_f64 v[124:125], v[124:125], v[138:139]
	v_add_f64 v[132:133], v[132:133], v[144:145]
	;; [unrolled: 1-line block ×3, first 2 shown]
	v_fma_f64 v[138:139], s[16:17], v[198:199], v[142:143]
	v_fma_f64 v[142:143], v[198:199], s[16:17], -v[142:143]
	v_fma_f64 v[144:145], v[196:197], s[12:13], -v[148:149]
	v_fma_f64 v[146:147], s[12:13], v[198:199], v[150:151]
	v_fmac_f64_e32 v[148:149], s[12:13], v[196:197]
	v_fma_f64 v[150:151], v[198:199], s[12:13], -v[150:151]
	v_lshl_add_u32 v162, v162, 4, 0
	v_add_f64 v[114:115], v[114:115], v[166:167]
	v_add_f64 v[122:123], v[122:123], v[168:169]
	;; [unrolled: 1-line block ×9, first 2 shown]
	ds_write_b128 v162, v[104:107]
	ds_write_b128 v162, v[100:103] offset:64
	ds_write_b128 v162, v[112:115] offset:128
	;; [unrolled: 1-line block ×12, first 2 shown]
	s_and_saveexec_b64 s[42:43], vcc
	s_cbranch_execz .LBB0_21
; %bb.20:
	v_mul_f64 v[100:101], v[24:25], v[86:87]
	v_fmac_f64_e32 v[100:101], v[26:27], v[84:85]
	v_mul_f64 v[26:27], v[26:27], v[86:87]
	v_mul_f64 v[102:103], v[40:41], v[82:83]
	v_fma_f64 v[84:85], v[24:25], v[84:85], -v[26:27]
	v_mul_f64 v[24:25], v[42:43], v[82:83]
	v_fmac_f64_e32 v[102:103], v[42:43], v[80:81]
	v_fma_f64 v[40:41], v[40:41], v[80:81], -v[24:25]
	v_mul_f64 v[80:81], v[20:21], v[70:71]
	v_fmac_f64_e32 v[80:81], v[22:23], v[68:69]
	v_mul_f64 v[22:23], v[22:23], v[70:71]
	v_mul_f64 v[82:83], v[32:33], v[74:75]
	v_fma_f64 v[42:43], v[20:21], v[68:69], -v[22:23]
	v_mul_f64 v[20:21], v[34:35], v[74:75]
	v_fmac_f64_e32 v[82:83], v[34:35], v[72:73]
	v_fma_f64 v[32:33], v[32:33], v[72:73], -v[20:21]
	v_mul_f64 v[70:71], v[16:17], v[66:67]
	v_mul_f64 v[72:73], v[12:13], v[62:63]
	v_fmac_f64_e32 v[70:71], v[18:19], v[64:65]
	v_mul_f64 v[68:69], v[36:37], v[98:99]
	v_mul_f64 v[18:19], v[18:19], v[66:67]
	v_fmac_f64_e32 v[72:73], v[14:15], v[60:61]
	;; [unrolled: 3-line block ×3, first 2 shown]
	v_fma_f64 v[64:65], v[16:17], v[64:65], -v[18:19]
	v_mul_f64 v[16:17], v[38:39], v[98:99]
	v_fma_f64 v[38:39], v[12:13], v[60:61], -v[14:15]
	v_fmac_f64_e32 v[62:63], v[10:11], v[56:57]
	v_mul_f64 v[60:61], v[48:49], v[90:91]
	v_mul_f64 v[10:11], v[10:11], v[58:59]
	;; [unrolled: 1-line block ×3, first 2 shown]
	v_fmac_f64_e32 v[60:61], v[50:51], v[88:89]
	v_fma_f64 v[56:57], v[8:9], v[56:57], -v[10:11]
	v_mul_f64 v[8:9], v[50:51], v[90:91]
	v_fmac_f64_e32 v[58:59], v[6:7], v[52:53]
	v_mul_f64 v[50:51], v[44:45], v[78:79]
	v_mul_f64 v[6:7], v[6:7], v[54:55]
	v_fmac_f64_e32 v[50:51], v[46:47], v[76:77]
	v_fma_f64 v[52:53], v[4:5], v[52:53], -v[6:7]
	v_mul_f64 v[4:5], v[46:47], v[78:79]
	v_mul_f64 v[66:67], v[28:29], v[94:95]
	v_add_f64 v[114:115], v[58:59], v[50:51]
	v_fma_f64 v[44:45], v[44:45], v[76:77], -v[4:5]
	v_fmac_f64_e32 v[66:67], v[30:31], v[92:93]
	v_mul_f64 v[12:13], v[30:31], v[94:95]
	v_add_f64 v[112:113], v[62:63], v[60:61]
	v_fma_f64 v[48:49], v[48:49], v[88:89], -v[8:9]
	v_mul_f64 v[10:11], v[114:115], s[24:25]
	v_add_f64 v[46:47], v[52:53], -v[44:45]
	v_fma_f64 v[34:35], v[36:37], v[96:97], -v[16:17]
	v_add_f64 v[98:99], v[72:73], v[66:67]
	v_fma_f64 v[36:37], v[28:29], v[92:93], -v[12:13]
	v_mul_f64 v[14:15], v[112:113], s[2:3]
	v_add_f64 v[88:89], v[56:57], -v[48:49]
	v_fma_f64 v[4:5], s[38:39], v[46:47], v[10:11]
	v_add_f64 v[108:109], v[70:71], v[68:69]
	v_mul_f64 v[18:19], v[98:99], s[20:21]
	v_add_f64 v[92:93], v[38:39], -v[36:37]
	v_fma_f64 v[8:9], s[6:7], v[88:89], v[14:15]
	v_add_f64 v[4:5], v[2:3], v[4:5]
	v_add_f64 v[126:127], v[58:59], -v[50:51]
	v_add_f64 v[106:107], v[80:81], v[82:83]
	v_mul_f64 v[22:23], v[108:109], s[8:9]
	v_add_f64 v[96:97], v[64:65], -v[34:35]
	v_fma_f64 v[12:13], s[28:29], v[92:93], v[18:19]
	v_add_f64 v[4:5], v[8:9], v[4:5]
	v_add_f64 v[124:125], v[62:63], -v[60:61]
	v_add_f64 v[110:111], v[52:53], v[44:45]
	v_mul_f64 v[134:135], v[126:127], s[26:27]
	v_fmac_f64_e32 v[10:11], s[26:27], v[46:47]
	v_add_f64 v[104:105], v[100:101], v[102:103]
	v_mul_f64 v[26:27], v[106:107], s[16:17]
	v_add_f64 v[74:75], v[42:43], -v[32:33]
	v_fma_f64 v[16:17], s[10:11], v[96:97], v[22:23]
	v_add_f64 v[4:5], v[12:13], v[4:5]
	v_add_f64 v[122:123], v[72:73], -v[66:67]
	v_add_f64 v[94:95], v[56:57], v[48:49]
	v_mul_f64 v[130:131], v[124:125], s[34:35]
	v_fma_f64 v[136:137], s[24:25], v[110:111], v[134:135]
	v_fmac_f64_e32 v[14:15], s[34:35], v[88:89]
	v_add_f64 v[10:11], v[2:3], v[10:11]
	v_mul_f64 v[128:129], v[104:105], s[12:13]
	v_add_f64 v[86:87], v[84:85], -v[40:41]
	v_fma_f64 v[20:21], s[36:37], v[74:75], v[26:27]
	v_add_f64 v[4:5], v[16:17], v[4:5]
	v_add_f64 v[120:121], v[70:71], -v[68:69]
	v_add_f64 v[90:91], v[38:39], v[36:37]
	v_mul_f64 v[28:29], v[122:123], s[22:23]
	v_fma_f64 v[132:133], s[2:3], v[94:95], v[130:131]
	v_add_f64 v[136:137], v[0:1], v[136:137]
	v_fmac_f64_e32 v[18:19], s[22:23], v[92:93]
	v_add_f64 v[10:11], v[14:15], v[10:11]
	v_fma_f64 v[24:25], s[14:15], v[86:87], v[128:129]
	v_add_f64 v[4:5], v[20:21], v[4:5]
	v_add_f64 v[118:119], v[80:81], -v[82:83]
	v_add_f64 v[78:79], v[64:65], v[34:35]
	v_mul_f64 v[20:21], v[120:121], s[40:41]
	v_fma_f64 v[30:31], s[20:21], v[90:91], v[28:29]
	v_add_f64 v[132:133], v[132:133], v[136:137]
	v_fmac_f64_e32 v[22:23], s[40:41], v[96:97]
	v_add_f64 v[10:11], v[18:19], v[10:11]
	v_add_f64 v[6:7], v[24:25], v[4:5]
	v_add_f64 v[116:117], v[100:101], -v[102:103]
	v_add_f64 v[76:77], v[42:43], v[32:33]
	v_mul_f64 v[12:13], v[118:119], s[18:19]
	v_fma_f64 v[24:25], s[8:9], v[78:79], v[20:21]
	v_add_f64 v[30:31], v[30:31], v[132:133]
	v_fmac_f64_e32 v[26:27], s[18:19], v[74:75]
	v_add_f64 v[10:11], v[22:23], v[10:11]
	v_add_f64 v[54:55], v[84:85], v[40:41]
	v_mul_f64 v[8:9], v[116:117], s[30:31]
	v_fma_f64 v[16:17], s[16:17], v[76:77], v[12:13]
	v_add_f64 v[24:25], v[24:25], v[30:31]
	v_fmac_f64_e32 v[128:129], s[30:31], v[86:87]
	v_add_f64 v[10:11], v[26:27], v[10:11]
	v_fma_f64 v[4:5], s[12:13], v[54:55], v[8:9]
	v_add_f64 v[16:17], v[16:17], v[24:25]
	v_add_f64 v[10:11], v[128:129], v[10:11]
	v_fma_f64 v[14:15], v[78:79], s[8:9], -v[20:21]
	v_fma_f64 v[20:21], v[110:111], s[24:25], -v[134:135]
	v_mul_f64 v[128:129], v[114:115], s[20:21]
	v_add_f64 v[4:5], v[4:5], v[16:17]
	v_fma_f64 v[16:17], v[90:91], s[20:21], -v[28:29]
	v_fma_f64 v[18:19], v[94:95], s[2:3], -v[130:131]
	v_add_f64 v[20:21], v[0:1], v[20:21]
	v_mul_f64 v[28:29], v[112:113], s[12:13]
	v_fma_f64 v[130:131], s[28:29], v[46:47], v[128:129]
	v_mul_f64 v[142:143], v[126:127], s[22:23]
	v_add_f64 v[18:19], v[18:19], v[20:21]
	v_mul_f64 v[24:25], v[98:99], s[8:9]
	v_fma_f64 v[30:31], s[14:15], v[88:89], v[28:29]
	v_add_f64 v[130:131], v[2:3], v[130:131]
	v_mul_f64 v[138:139], v[124:125], s[30:31]
	v_fma_f64 v[144:145], s[20:21], v[110:111], v[142:143]
	;; [unrolled: 3-line block ×4, first 2 shown]
	v_add_f64 v[144:145], v[0:1], v[144:145]
	v_fma_f64 v[12:13], v[76:77], s[16:17], -v[12:13]
	v_add_f64 v[14:15], v[14:15], v[16:17]
	v_mul_f64 v[18:19], v[106:107], s[2:3]
	v_fma_f64 v[22:23], s[26:27], v[96:97], v[20:21]
	v_add_f64 v[26:27], v[26:27], v[30:31]
	v_mul_f64 v[130:131], v[120:121], s[38:39]
	v_fma_f64 v[136:137], s[8:9], v[90:91], v[134:135]
	v_add_f64 v[140:141], v[140:141], v[144:145]
	v_fma_f64 v[8:9], v[54:55], s[12:13], -v[8:9]
	v_add_f64 v[12:13], v[12:13], v[14:15]
	v_mul_f64 v[16:17], v[104:105], s[16:17]
	v_fma_f64 v[14:15], s[6:7], v[74:75], v[18:19]
	v_add_f64 v[22:23], v[22:23], v[26:27]
	v_mul_f64 v[26:27], v[118:119], s[34:35]
	v_fma_f64 v[132:133], s[24:25], v[78:79], v[130:131]
	v_add_f64 v[136:137], v[136:137], v[140:141]
	v_add_f64 v[8:9], v[8:9], v[12:13]
	v_fma_f64 v[12:13], s[36:37], v[86:87], v[16:17]
	v_add_f64 v[14:15], v[14:15], v[22:23]
	v_mul_f64 v[22:23], v[116:117], s[18:19]
	v_fma_f64 v[30:31], s[2:3], v[76:77], v[26:27]
	v_add_f64 v[132:133], v[132:133], v[136:137]
	v_add_f64 v[14:15], v[12:13], v[14:15]
	v_fma_f64 v[12:13], s[16:17], v[54:55], v[22:23]
	v_add_f64 v[30:31], v[30:31], v[132:133]
	v_fmac_f64_e32 v[128:129], s[22:23], v[46:47]
	v_add_f64 v[12:13], v[12:13], v[30:31]
	v_fmac_f64_e32 v[28:29], s[30:31], v[88:89]
	v_add_f64 v[30:31], v[2:3], v[128:129]
	v_fmac_f64_e32 v[24:25], s[10:11], v[92:93]
	v_add_f64 v[28:29], v[28:29], v[30:31]
	v_fmac_f64_e32 v[20:21], s[38:39], v[96:97]
	v_add_f64 v[24:25], v[24:25], v[28:29]
	v_fmac_f64_e32 v[18:19], s[34:35], v[74:75]
	v_add_f64 v[20:21], v[20:21], v[24:25]
	v_fma_f64 v[28:29], v[110:111], s[20:21], -v[142:143]
	v_mul_f64 v[136:137], v[114:115], s[16:17]
	v_add_f64 v[18:19], v[18:19], v[20:21]
	v_fma_f64 v[20:21], v[76:77], s[2:3], -v[26:27]
	v_fma_f64 v[26:27], v[94:95], s[12:13], -v[138:139]
	v_add_f64 v[28:29], v[0:1], v[28:29]
	v_mul_f64 v[132:133], v[112:113], s[20:21]
	v_fma_f64 v[138:139], s[36:37], v[46:47], v[136:137]
	v_mul_f64 v[150:151], v[126:127], s[18:19]
	v_fmac_f64_e32 v[16:17], s[18:19], v[86:87]
	v_fma_f64 v[24:25], v[90:91], s[8:9], -v[134:135]
	v_add_f64 v[26:27], v[26:27], v[28:29]
	v_mul_f64 v[128:129], v[98:99], s[2:3]
	v_fma_f64 v[134:135], s[22:23], v[88:89], v[132:133]
	v_add_f64 v[138:139], v[2:3], v[138:139]
	v_mul_f64 v[146:147], v[124:125], s[28:29]
	v_fma_f64 v[162:163], s[16:17], v[110:111], v[150:151]
	v_add_f64 v[18:19], v[16:17], v[18:19]
	v_fma_f64 v[16:17], v[54:55], s[16:17], -v[22:23]
	v_fma_f64 v[22:23], v[78:79], s[24:25], -v[130:131]
	v_add_f64 v[24:25], v[24:25], v[26:27]
	v_mul_f64 v[28:29], v[108:109], s[12:13]
	v_fma_f64 v[130:131], s[6:7], v[92:93], v[128:129]
	v_add_f64 v[134:135], v[134:135], v[138:139]
	v_mul_f64 v[142:143], v[122:123], s[34:35]
	v_fma_f64 v[148:149], s[20:21], v[94:95], v[146:147]
	v_add_f64 v[162:163], v[0:1], v[162:163]
	v_add_f64 v[22:23], v[22:23], v[24:25]
	v_mul_f64 v[26:27], v[106:107], s[24:25]
	v_fma_f64 v[30:31], s[30:31], v[96:97], v[28:29]
	v_add_f64 v[130:131], v[130:131], v[134:135]
	v_mul_f64 v[138:139], v[120:121], s[14:15]
	v_fma_f64 v[144:145], s[2:3], v[90:91], v[142:143]
	v_add_f64 v[148:149], v[148:149], v[162:163]
	v_add_f64 v[20:21], v[20:21], v[22:23]
	v_mul_f64 v[24:25], v[104:105], s[8:9]
	v_fma_f64 v[22:23], s[26:27], v[74:75], v[26:27]
	v_add_f64 v[30:31], v[30:31], v[130:131]
	v_mul_f64 v[130:131], v[118:119], s[38:39]
	v_fma_f64 v[140:141], s[12:13], v[78:79], v[138:139]
	v_add_f64 v[144:145], v[144:145], v[148:149]
	v_add_f64 v[16:17], v[16:17], v[20:21]
	v_fma_f64 v[20:21], s[10:11], v[86:87], v[24:25]
	v_add_f64 v[22:23], v[22:23], v[30:31]
	v_mul_f64 v[30:31], v[116:117], s[40:41]
	v_fma_f64 v[134:135], s[24:25], v[76:77], v[130:131]
	v_add_f64 v[140:141], v[140:141], v[144:145]
	v_add_f64 v[22:23], v[20:21], v[22:23]
	v_fma_f64 v[20:21], s[8:9], v[54:55], v[30:31]
	v_add_f64 v[134:135], v[134:135], v[140:141]
	v_fmac_f64_e32 v[136:137], s[18:19], v[46:47]
	v_add_f64 v[20:21], v[20:21], v[134:135]
	v_fmac_f64_e32 v[132:133], s[28:29], v[88:89]
	v_add_f64 v[134:135], v[2:3], v[136:137]
	v_fmac_f64_e32 v[128:129], s[34:35], v[92:93]
	v_add_f64 v[132:133], v[132:133], v[134:135]
	v_fmac_f64_e32 v[28:29], s[14:15], v[96:97]
	v_add_f64 v[128:129], v[128:129], v[132:133]
	v_fmac_f64_e32 v[26:27], s[38:39], v[74:75]
	v_add_f64 v[28:29], v[28:29], v[128:129]
	v_fma_f64 v[132:133], v[110:111], s[16:17], -v[150:151]
	v_mul_f64 v[144:145], v[114:115], s[12:13]
	v_add_f64 v[26:27], v[26:27], v[28:29]
	v_fma_f64 v[28:29], v[76:77], s[24:25], -v[130:131]
	v_fma_f64 v[130:131], v[94:95], s[20:21], -v[146:147]
	v_add_f64 v[132:133], v[0:1], v[132:133]
	v_mul_f64 v[140:141], v[112:113], s[24:25]
	v_fma_f64 v[146:147], s[30:31], v[46:47], v[144:145]
	v_mul_f64 v[168:169], v[126:127], s[14:15]
	v_fmac_f64_e32 v[24:25], s[40:41], v[86:87]
	v_fma_f64 v[128:129], v[90:91], s[2:3], -v[142:143]
	v_add_f64 v[130:131], v[130:131], v[132:133]
	v_mul_f64 v[136:137], v[98:99], s[16:17]
	v_fma_f64 v[142:143], s[38:39], v[88:89], v[140:141]
	v_add_f64 v[146:147], v[2:3], v[146:147]
	v_mul_f64 v[164:165], v[124:125], s[26:27]
	v_fma_f64 v[170:171], s[12:13], v[110:111], v[168:169]
	v_add_f64 v[26:27], v[24:25], v[26:27]
	v_fma_f64 v[24:25], v[54:55], s[8:9], -v[30:31]
	v_fma_f64 v[30:31], v[78:79], s[12:13], -v[138:139]
	v_add_f64 v[128:129], v[128:129], v[130:131]
	v_mul_f64 v[132:133], v[108:109], s[2:3]
	v_fma_f64 v[138:139], s[18:19], v[92:93], v[136:137]
	v_add_f64 v[142:143], v[142:143], v[146:147]
	v_mul_f64 v[150:151], v[122:123], s[36:37]
	v_fma_f64 v[166:167], s[24:25], v[94:95], v[164:165]
	v_add_f64 v[170:171], v[0:1], v[170:171]
	v_add_f64 v[30:31], v[30:31], v[128:129]
	v_mul_f64 v[130:131], v[106:107], s[8:9]
	v_fma_f64 v[134:135], s[6:7], v[96:97], v[132:133]
	v_add_f64 v[138:139], v[138:139], v[142:143]
	v_mul_f64 v[146:147], v[120:121], s[34:35]
	v_fma_f64 v[162:163], s[16:17], v[90:91], v[150:151]
	v_add_f64 v[166:167], v[166:167], v[170:171]
	;; [unrolled: 60-line block ×3, first 2 shown]
	v_add_f64 v[132:133], v[132:133], v[134:135]
	v_mul_f64 v[136:137], v[104:105], s[2:3]
	v_fma_f64 v[134:135], s[14:15], v[74:75], v[138:139]
	v_add_f64 v[142:143], v[142:143], v[146:147]
	v_mul_f64 v[146:147], v[118:119], s[30:31]
	v_fma_f64 v[166:167], s[20:21], v[78:79], v[164:165]
	v_add_f64 v[170:171], v[170:171], v[174:175]
	v_add_f64 v[128:129], v[128:129], v[132:133]
	v_fma_f64 v[132:133], s[6:7], v[86:87], v[136:137]
	v_add_f64 v[134:135], v[134:135], v[142:143]
	v_mul_f64 v[142:143], v[116:117], s[34:35]
	v_fma_f64 v[150:151], s[12:13], v[76:77], v[146:147]
	v_add_f64 v[166:167], v[166:167], v[170:171]
	v_add_f64 v[134:135], v[132:133], v[134:135]
	v_fma_f64 v[132:133], s[2:3], v[54:55], v[142:143]
	v_add_f64 v[150:151], v[150:151], v[166:167]
	v_fmac_f64_e32 v[162:163], s[10:11], v[46:47]
	v_add_f64 v[132:133], v[132:133], v[150:151]
	v_fmac_f64_e32 v[148:149], s[18:19], v[88:89]
	;; [unrolled: 2-line block ×5, first 2 shown]
	v_add_f64 v[140:141], v[140:141], v[144:145]
	v_fma_f64 v[148:149], v[110:111], s[8:9], -v[176:177]
	v_add_f64 v[138:139], v[138:139], v[140:141]
	v_fma_f64 v[140:141], v[76:77], s[12:13], -v[146:147]
	v_fma_f64 v[146:147], v[94:95], s[16:17], -v[172:173]
	v_add_f64 v[148:149], v[0:1], v[148:149]
	v_fmac_f64_e32 v[136:137], s[34:35], v[86:87]
	v_fma_f64 v[144:145], v[90:91], s[24:25], -v[168:169]
	v_add_f64 v[146:147], v[146:147], v[148:149]
	v_add_f64 v[138:139], v[136:137], v[138:139]
	v_fma_f64 v[136:137], v[54:55], s[2:3], -v[142:143]
	v_fma_f64 v[142:143], v[78:79], s[20:21], -v[164:165]
	v_add_f64 v[144:145], v[144:145], v[146:147]
	v_add_f64 v[142:143], v[142:143], v[144:145]
	;; [unrolled: 1-line block ×4, first 2 shown]
	v_mul_f64 v[140:141], v[104:105], s[24:25]
	v_mul_f64 v[114:115], v[114:115], s[2:3]
	;; [unrolled: 1-line block ×3, first 2 shown]
	v_fma_f64 v[104:105], s[38:39], v[86:87], v[140:141]
	v_fma_f64 v[150:151], s[34:35], v[46:47], v[114:115]
	;; [unrolled: 1-line block ×3, first 2 shown]
	v_fmac_f64_e32 v[140:141], s[26:27], v[86:87]
	v_fmac_f64_e32 v[114:115], s[6:7], v[46:47]
	v_fma_f64 v[86:87], v[110:111], s[2:3], -v[126:127]
	v_add_f64 v[150:151], v[2:3], v[150:151]
	v_add_f64 v[162:163], v[0:1], v[162:163]
	;; [unrolled: 1-line block ×8, first 2 shown]
	v_mul_f64 v[112:113], v[112:113], s[8:9]
	v_add_f64 v[2:3], v[2:3], v[72:73]
	v_add_f64 v[0:1], v[0:1], v[38:39]
	v_mul_f64 v[98:99], v[98:99], s[12:13]
	v_fma_f64 v[148:149], s[40:41], v[88:89], v[112:113]
	v_fmac_f64_e32 v[112:113], s[10:11], v[88:89]
	v_add_f64 v[2:3], v[2:3], v[70:71]
	v_add_f64 v[0:1], v[0:1], v[64:65]
	v_mul_f64 v[108:109], v[108:109], s[16:17]
	v_fma_f64 v[146:147], s[30:31], v[92:93], v[98:99]
	v_add_f64 v[148:149], v[148:149], v[150:151]
	v_fmac_f64_e32 v[98:99], s[14:15], v[92:93]
	v_add_f64 v[46:47], v[112:113], v[46:47]
	v_add_f64 v[2:3], v[2:3], v[80:81]
	;; [unrolled: 1-line block ×3, first 2 shown]
	v_mul_f64 v[142:143], v[106:107], s[20:21]
	v_fma_f64 v[144:145], s[36:37], v[96:97], v[108:109]
	v_add_f64 v[146:147], v[146:147], v[148:149]
	v_fmac_f64_e32 v[108:109], s[18:19], v[96:97]
	v_add_f64 v[46:47], v[98:99], v[46:47]
	v_add_f64 v[2:3], v[2:3], v[100:101]
	;; [unrolled: 1-line block ×3, first 2 shown]
	v_fma_f64 v[106:107], s[28:29], v[74:75], v[142:143]
	v_add_f64 v[144:145], v[144:145], v[146:147]
	v_mul_f64 v[120:121], v[120:121], s[18:19]
	v_mul_f64 v[124:125], v[124:125], s[10:11]
	v_fmac_f64_e32 v[142:143], s[22:23], v[74:75]
	v_add_f64 v[46:47], v[108:109], v[46:47]
	v_add_f64 v[2:3], v[2:3], v[102:103]
	;; [unrolled: 1-line block ×4, first 2 shown]
	v_mul_f64 v[116:117], v[116:117], s[26:27]
	v_mul_f64 v[118:119], v[118:119], s[22:23]
	v_fma_f64 v[146:147], s[16:17], v[78:79], v[120:121]
	v_mul_f64 v[122:123], v[122:123], s[14:15]
	v_fma_f64 v[150:151], s[8:9], v[94:95], v[124:125]
	v_add_f64 v[46:47], v[142:143], v[46:47]
	v_fma_f64 v[74:75], v[78:79], s[16:17], -v[120:121]
	v_fma_f64 v[78:79], v[94:95], s[8:9], -v[124:125]
	v_add_f64 v[2:3], v[2:3], v[82:83]
	v_add_f64 v[0:1], v[0:1], v[32:33]
	;; [unrolled: 1-line block ×3, first 2 shown]
	v_fma_f64 v[104:105], s[24:25], v[54:55], v[116:117]
	v_fma_f64 v[144:145], s[20:21], v[76:77], v[118:119]
	;; [unrolled: 1-line block ×3, first 2 shown]
	v_add_f64 v[150:151], v[150:151], v[162:163]
	v_add_f64 v[88:89], v[140:141], v[46:47]
	v_fma_f64 v[46:47], v[54:55], s[24:25], -v[116:117]
	v_fma_f64 v[54:55], v[76:77], s[20:21], -v[118:119]
	;; [unrolled: 1-line block ×3, first 2 shown]
	v_add_f64 v[78:79], v[78:79], v[86:87]
	v_add_f64 v[2:3], v[2:3], v[68:69]
	;; [unrolled: 1-line block ×3, first 2 shown]
	v_lshrrev_b32_e32 v32, 2, v187
	v_add_f64 v[148:149], v[148:149], v[150:151]
	v_add_f64 v[76:77], v[76:77], v[78:79]
	;; [unrolled: 1-line block ×4, first 2 shown]
	v_mul_u32_u24_e32 v32, 52, v32
	v_add_f64 v[146:147], v[146:147], v[148:149]
	v_add_f64 v[74:75], v[74:75], v[76:77]
	;; [unrolled: 1-line block ×4, first 2 shown]
	v_or_b32_e32 v32, v32, v188
	v_add_f64 v[144:145], v[144:145], v[146:147]
	v_add_f64 v[54:55], v[54:55], v[74:75]
	;; [unrolled: 1-line block ×4, first 2 shown]
	v_lshl_add_u32 v32, v32, 4, 0
	v_add_f64 v[104:105], v[104:105], v[144:145]
	v_add_f64 v[86:87], v[46:47], v[54:55]
	ds_write_b128 v32, v[0:3]
	ds_write_b128 v32, v[86:89] offset:64
	ds_write_b128 v32, v[136:139] offset:128
	;; [unrolled: 1-line block ×12, first 2 shown]
.LBB0_21:
	s_or_b64 exec, exec, s[42:43]
	s_movk_i32 s2, 0x4f
	v_mul_lo_u16_sdwa v0, v186, s2 dst_sel:DWORD dst_unused:UNUSED_PAD src0_sel:BYTE_0 src1_sel:DWORD
	v_lshrrev_b16_e32 v0, 12, v0
	v_mul_lo_u16_e32 v0, 52, v0
	v_sub_u16_e32 v0, v186, v0
	v_mov_b32_e32 v1, 4
	v_lshlrev_b32_sdwa v148, v1, v0 dst_sel:DWORD dst_unused:UNUSED_PAD src0_sel:DWORD src1_sel:BYTE_0
	v_mul_lo_u16_sdwa v0, v185, s2 dst_sel:DWORD dst_unused:UNUSED_PAD src0_sel:BYTE_0 src1_sel:DWORD
	v_lshrrev_b16_e32 v0, 12, v0
	v_mul_lo_u16_e32 v0, 52, v0
	s_movk_i32 s2, 0x4ec5
	v_sub_u16_e32 v0, v185, v0
	v_mul_u32_u24_sdwa v3, v182, s2 dst_sel:DWORD dst_unused:UNUSED_PAD src0_sel:WORD_0 src1_sel:DWORD
	v_lshlrev_b32_sdwa v149, v1, v0 dst_sel:DWORD dst_unused:UNUSED_PAD src0_sel:DWORD src1_sel:BYTE_0
	v_lshrrev_b32_e32 v0, 20, v3
	v_mul_lo_u16_e32 v0, 52, v0
	v_sub_u16_e32 v0, v182, v0
	v_mul_u32_u24_sdwa v2, v180, s2 dst_sel:DWORD dst_unused:UNUSED_PAD src0_sel:WORD_0 src1_sel:DWORD
	v_lshlrev_b32_e32 v150, 4, v0
	v_lshrrev_b32_e32 v0, 20, v2
	v_mul_lo_u16_e32 v0, 52, v0
	v_sub_u16_e32 v0, v180, v0
	v_mul_u32_u24_sdwa v1, v181, s2 dst_sel:DWORD dst_unused:UNUSED_PAD src0_sel:WORD_0 src1_sel:DWORD
	v_lshlrev_b32_e32 v151, 4, v0
	v_lshrrev_b32_e32 v0, 20, v1
	v_lshl_add_u64 v[32:33], v[158:159], 4, s[4:5]
	v_mul_lo_u16_e32 v0, 52, v0
	s_waitcnt lgkmcnt(0)
	; wave barrier
	s_waitcnt lgkmcnt(0)
	global_load_dwordx4 v[4:7], v[32:33], off offset:800
	global_load_dwordx4 v[8:11], v148, s[4:5] offset:800
	v_sub_u16_e32 v0, v181, v0
	v_lshlrev_b32_e32 v158, 4, v0
	v_mul_u32_u24_sdwa v0, v179, s2 dst_sel:DWORD dst_unused:UNUSED_PAD src0_sel:WORD_0 src1_sel:DWORD
	v_lshrrev_b32_e32 v28, 20, v0
	v_mul_u32_u24_sdwa v38, v183, s2 dst_sel:DWORD dst_unused:UNUSED_PAD src0_sel:WORD_0 src1_sel:DWORD
	v_mul_lo_u16_e32 v28, 52, v28
	v_lshrrev_b32_e32 v38, 20, v38
	v_sub_u16_e32 v28, v179, v28
	v_mul_lo_u16_e32 v38, 52, v38
	global_load_dwordx4 v[12:15], v149, s[4:5] offset:800
	global_load_dwordx4 v[16:19], v150, s[4:5] offset:800
	v_lshlrev_b32_e32 v159, 4, v28
	v_mul_u32_u24_sdwa v28, v184, s2 dst_sel:DWORD dst_unused:UNUSED_PAD src0_sel:WORD_0 src1_sel:DWORD
	v_sub_u16_e32 v38, v183, v38
	v_lshrrev_b32_e32 v28, 20, v28
	v_lshlrev_b32_e32 v163, 4, v38
	v_mul_u32_u24_sdwa v38, v161, s2 dst_sel:DWORD dst_unused:UNUSED_PAD src0_sel:WORD_0 src1_sel:DWORD
	global_load_dwordx4 v[20:23], v151, s[4:5] offset:800
	global_load_dwordx4 v[24:27], v158, s[4:5] offset:800
	v_mul_lo_u16_e32 v28, 52, v28
	v_lshrrev_b32_e32 v38, 20, v38
	v_mul_u32_u24_sdwa v46, v157, s2 dst_sel:DWORD dst_unused:UNUSED_PAD src0_sel:WORD_0 src1_sel:DWORD
	v_sub_u16_e32 v28, v184, v28
	v_mul_lo_u16_e32 v38, 52, v38
	v_lshrrev_b32_e32 v46, 20, v46
	v_lshlrev_b32_e32 v162, 4, v28
	global_load_dwordx4 v[28:31], v159, s[4:5] offset:800
	global_load_dwordx4 v[34:37], v162, s[4:5] offset:800
	v_sub_u16_e32 v42, v161, v38
	v_mul_lo_u16_e32 v46, 52, v46
	global_load_dwordx4 v[38:41], v163, s[4:5] offset:800
	v_lshlrev_b32_e32 v161, 4, v42
	v_sub_u16_e32 v46, v157, v46
	global_load_dwordx4 v[42:45], v161, s[4:5] offset:800
	v_lshlrev_b32_e32 v157, 4, v46
	global_load_dwordx4 v[46:49], v157, s[4:5] offset:800
	ds_read_b128 v[50:53], v178
	ds_read_b128 v[54:57], v178 offset:832
	ds_read_b128 v[58:61], v178 offset:9984
	;; [unrolled: 1-line block ×23, first 2 shown]
	s_waitcnt lgkmcnt(0)
	; wave barrier
	s_waitcnt lgkmcnt(0)
	v_lshrrev_b32_e32 v3, 21, v3
	v_mul_lo_u16_e32 v3, 0x68, v3
	v_lshrrev_b32_e32 v2, 21, v2
	v_mul_lo_u16_e32 v2, 0x68, v2
	;; [unrolled: 2-line block ×4, first 2 shown]
	s_mov_b32 s2, 0xe8584caa
	s_mov_b32 s3, 0x3febb67a
	;; [unrolled: 1-line block ×4, first 2 shown]
	s_waitcnt vmcnt(10)
	v_mul_f64 v[146:147], v[60:61], v[6:7]
	v_fma_f64 v[146:147], v[58:59], v[4:5], -v[146:147]
	v_mul_f64 v[58:59], v[58:59], v[6:7]
	v_fmac_f64_e32 v[58:59], v[60:61], v[4:5]
	v_mul_f64 v[60:61], v[64:65], v[6:7]
	v_fma_f64 v[60:61], v[62:63], v[4:5], -v[60:61]
	v_mul_f64 v[62:63], v[62:63], v[6:7]
	v_fmac_f64_e32 v[62:63], v[64:65], v[4:5]
	s_waitcnt vmcnt(9)
	v_mul_f64 v[4:5], v[76:77], v[10:11]
	v_fma_f64 v[64:65], v[74:75], v[8:9], -v[4:5]
	v_mul_f64 v[74:75], v[74:75], v[10:11]
	s_waitcnt vmcnt(8)
	v_mul_f64 v[4:5], v[80:81], v[14:15]
	v_fmac_f64_e32 v[74:75], v[76:77], v[8:9]
	v_fma_f64 v[76:77], v[78:79], v[12:13], -v[4:5]
	v_mul_f64 v[78:79], v[78:79], v[14:15]
	s_waitcnt vmcnt(7)
	v_mul_f64 v[4:5], v[92:93], v[18:19]
	v_fmac_f64_e32 v[78:79], v[80:81], v[12:13]
	;; [unrolled: 5-line block ×9, first 2 shown]
	v_fma_f64 v[140:141], v[142:143], v[46:47], -v[4:5]
	v_add_f64 v[4:5], v[50:51], -v[146:147]
	v_add_f64 v[6:7], v[52:53], -v[58:59]
	v_fma_f64 v[8:9], v[50:51], 2.0, -v[4:5]
	v_fma_f64 v[10:11], v[52:53], 2.0, -v[6:7]
	v_add_f64 v[12:13], v[54:55], -v[60:61]
	v_add_f64 v[14:15], v[56:57], -v[62:63]
	;; [unrolled: 1-line block ×4, first 2 shown]
	v_fma_f64 v[16:17], v[54:55], 2.0, -v[12:13]
	v_fma_f64 v[18:19], v[56:57], 2.0, -v[14:15]
	;; [unrolled: 1-line block ×4, first 2 shown]
	v_add_f64 v[28:29], v[70:71], -v[76:77]
	v_add_f64 v[30:31], v[72:73], -v[78:79]
	ds_write_b128 v178, v[8:11]
	ds_write_b128 v178, v[4:7] offset:832
	ds_write_b128 v178, v[16:19] offset:1664
	;; [unrolled: 1-line block ×3, first 2 shown]
	v_add_u32_e32 v4, 0, v148
	v_mul_f64 v[142:143], v[142:143], v[48:49]
	v_fma_f64 v[34:35], v[70:71], 2.0, -v[28:29]
	v_fma_f64 v[36:37], v[72:73], 2.0, -v[30:31]
	v_add_f64 v[38:39], v[82:83], -v[80:81]
	v_add_f64 v[40:41], v[84:85], -v[90:91]
	ds_write_b128 v4, v[24:27] offset:3328
	ds_write_b128 v4, v[20:23] offset:4160
	v_add_u32_e32 v4, 0, v149
	v_fmac_f64_e32 v[142:143], v[144:145], v[46:47]
	v_fma_f64 v[42:43], v[82:83], 2.0, -v[38:39]
	v_fma_f64 v[44:45], v[84:85], 2.0, -v[40:41]
	v_add_f64 v[46:47], v[86:87], -v[92:93]
	v_add_f64 v[48:49], v[88:89], -v[94:95]
	ds_write_b128 v4, v[34:37] offset:4992
	ds_write_b128 v4, v[28:31] offset:5824
	v_add_u32_e32 v4, 0, v150
	v_fma_f64 v[50:51], v[86:87], 2.0, -v[46:47]
	v_fma_f64 v[52:53], v[88:89], 2.0, -v[48:49]
	v_add_f64 v[54:55], v[98:99], -v[96:97]
	v_add_f64 v[56:57], v[100:101], -v[106:107]
	ds_write_b128 v4, v[42:45] offset:6656
	ds_write_b128 v4, v[38:41] offset:7488
	v_add_u32_e32 v4, 0, v151
	;; [unrolled: 7-line block ×7, first 2 shown]
	v_fma_f64 v[98:99], v[134:135], 2.0, -v[94:95]
	v_fma_f64 v[100:101], v[136:137], 2.0, -v[96:97]
	ds_write_b128 v4, v[90:93] offset:16640
	ds_write_b128 v4, v[86:89] offset:17472
	v_add_u32_e32 v4, 0, v157
	v_mov_b32_e32 v157, 0
	ds_write_b128 v4, v[98:101] offset:18304
	ds_write_b128 v4, v[94:97] offset:19136
	v_lshl_add_u64 v[4:5], v[156:157], 4, s[4:5]
	s_waitcnt lgkmcnt(0)
	; wave barrier
	s_waitcnt lgkmcnt(0)
	global_load_dwordx4 v[36:39], v[4:5], off offset:1632
	global_load_dwordx4 v[40:43], v[4:5], off offset:1648
	v_mov_b32_e32 v161, v157
	v_lshl_add_u64 v[4:5], v[160:161], 4, s[4:5]
	global_load_dwordx4 v[44:47], v[4:5], off offset:1632
	global_load_dwordx4 v[48:51], v[4:5], off offset:1648
	v_sub_u16_e32 v34, v182, v3
	v_lshlrev_b32_e32 v3, 5, v34
	global_load_dwordx4 v[52:55], v3, s[4:5] offset:1632
	global_load_dwordx4 v[56:59], v3, s[4:5] offset:1648
	v_sub_u16_e32 v35, v180, v2
	v_lshlrev_b32_e32 v2, 5, v35
	global_load_dwordx4 v[60:63], v2, s[4:5] offset:1632
	global_load_dwordx4 v[64:67], v2, s[4:5] offset:1648
	v_sub_u16_e32 v150, v181, v1
	v_lshlrev_b32_e32 v1, 5, v150
	v_sub_u16_e32 v151, v179, v0
	global_load_dwordx4 v[68:71], v1, s[4:5] offset:1632
	global_load_dwordx4 v[72:75], v1, s[4:5] offset:1648
	v_lshlrev_b32_e32 v0, 5, v151
	global_load_dwordx4 v[76:79], v0, s[4:5] offset:1648
	global_load_dwordx4 v[80:83], v0, s[4:5] offset:1632
	ds_read_b128 v[28:31], v178
	ds_read_b128 v[24:27], v178 offset:832
	ds_read_b128 v[84:87], v178 offset:6656
	;; [unrolled: 1-line block ×23, first 2 shown]
	s_waitcnt lgkmcnt(0)
	; wave barrier
	s_waitcnt vmcnt(11) lgkmcnt(0)
	v_mul_f64 v[148:149], v[86:87], v[38:39]
	v_fma_f64 v[148:149], v[84:85], v[36:37], -v[148:149]
	v_mul_f64 v[84:85], v[84:85], v[38:39]
	v_fmac_f64_e32 v[84:85], v[86:87], v[36:37]
	s_waitcnt vmcnt(10)
	v_mul_f64 v[86:87], v[94:95], v[42:43]
	v_fma_f64 v[86:87], v[92:93], v[40:41], -v[86:87]
	v_mul_f64 v[92:93], v[92:93], v[42:43]
	v_fmac_f64_e32 v[92:93], v[94:95], v[40:41]
	s_waitcnt vmcnt(9)
	;; [unrolled: 5-line block ×3, first 2 shown]
	v_mul_f64 v[90:91], v[98:99], v[50:51]
	v_fma_f64 v[90:91], v[96:97], v[48:49], -v[90:91]
	v_mul_f64 v[96:97], v[96:97], v[50:51]
	v_fmac_f64_e32 v[96:97], v[98:99], v[48:49]
	v_mul_f64 v[98:99], v[102:103], v[38:39]
	v_fma_f64 v[98:99], v[100:101], v[36:37], -v[98:99]
	v_mul_f64 v[100:101], v[100:101], v[38:39]
	v_fmac_f64_e32 v[100:101], v[102:103], v[36:37]
	v_mul_f64 v[36:37], v[110:111], v[42:43]
	v_fma_f64 v[102:103], v[108:109], v[40:41], -v[36:37]
	v_mul_f64 v[108:109], v[108:109], v[42:43]
	v_mul_f64 v[36:37], v[106:107], v[46:47]
	v_fmac_f64_e32 v[108:109], v[110:111], v[40:41]
	v_fma_f64 v[110:111], v[104:105], v[44:45], -v[36:37]
	v_mul_f64 v[104:105], v[104:105], v[46:47]
	v_mul_f64 v[36:37], v[114:115], v[50:51]
	v_fmac_f64_e32 v[104:105], v[106:107], v[44:45]
	v_fma_f64 v[106:107], v[112:113], v[48:49], -v[36:37]
	v_mul_f64 v[112:113], v[112:113], v[50:51]
	s_waitcnt vmcnt(7)
	v_mul_f64 v[36:37], v[118:119], v[54:55]
	v_fmac_f64_e32 v[112:113], v[114:115], v[48:49]
	v_fma_f64 v[114:115], v[116:117], v[52:53], -v[36:37]
	v_mul_f64 v[116:117], v[116:117], v[54:55]
	s_waitcnt vmcnt(6)
	;; [unrolled: 5-line block ×7, first 2 shown]
	v_mul_f64 v[36:37], v[138:139], v[82:83]
	v_fmac_f64_e32 v[140:141], v[142:143], v[72:73]
	v_fma_f64 v[142:143], v[136:137], v[80:81], -v[36:37]
	v_mul_f64 v[136:137], v[136:137], v[82:83]
	v_mul_f64 v[36:37], v[146:147], v[78:79]
	v_add_f64 v[38:39], v[148:149], v[86:87]
	v_fmac_f64_e32 v[136:137], v[138:139], v[80:81]
	v_fma_f64 v[138:139], v[144:145], v[76:77], -v[36:37]
	v_add_f64 v[36:37], v[28:29], v[148:149]
	v_fmac_f64_e32 v[28:29], -0.5, v[38:39]
	v_add_f64 v[38:39], v[84:85], -v[92:93]
	v_add_f64 v[42:43], v[84:85], v[92:93]
	v_fma_f64 v[40:41], s[2:3], v[38:39], v[28:29]
	v_fmac_f64_e32 v[28:29], s[6:7], v[38:39]
	v_add_f64 v[38:39], v[30:31], v[84:85]
	v_fmac_f64_e32 v[30:31], -0.5, v[42:43]
	v_add_f64 v[44:45], v[148:149], -v[86:87]
	v_add_f64 v[46:47], v[94:95], v[90:91]
	v_fma_f64 v[42:43], s[6:7], v[44:45], v[30:31]
	v_fmac_f64_e32 v[30:31], s[2:3], v[44:45]
	v_add_f64 v[44:45], v[24:25], v[94:95]
	v_fmac_f64_e32 v[24:25], -0.5, v[46:47]
	v_add_f64 v[46:47], v[88:89], -v[96:97]
	v_add_f64 v[50:51], v[88:89], v[96:97]
	v_fma_f64 v[48:49], s[2:3], v[46:47], v[24:25]
	v_fmac_f64_e32 v[24:25], s[6:7], v[46:47]
	v_add_f64 v[46:47], v[26:27], v[88:89]
	v_fmac_f64_e32 v[26:27], -0.5, v[50:51]
	v_add_f64 v[52:53], v[94:95], -v[90:91]
	v_add_f64 v[54:55], v[98:99], v[102:103]
	v_fma_f64 v[50:51], s[6:7], v[52:53], v[26:27]
	v_fmac_f64_e32 v[26:27], s[2:3], v[52:53]
	v_add_f64 v[52:53], v[20:21], v[98:99]
	v_fmac_f64_e32 v[20:21], -0.5, v[54:55]
	v_add_f64 v[54:55], v[100:101], -v[108:109]
	v_add_f64 v[58:59], v[100:101], v[108:109]
	v_fma_f64 v[56:57], s[2:3], v[54:55], v[20:21]
	v_fmac_f64_e32 v[20:21], s[6:7], v[54:55]
	v_add_f64 v[54:55], v[22:23], v[100:101]
	v_fmac_f64_e32 v[22:23], -0.5, v[58:59]
	v_add_f64 v[60:61], v[98:99], -v[102:103]
	v_add_f64 v[62:63], v[110:111], v[106:107]
	v_fma_f64 v[58:59], s[6:7], v[60:61], v[22:23]
	v_fmac_f64_e32 v[22:23], s[2:3], v[60:61]
	v_add_f64 v[60:61], v[16:17], v[110:111]
	v_fmac_f64_e32 v[16:17], -0.5, v[62:63]
	v_add_f64 v[62:63], v[104:105], -v[112:113]
	v_add_f64 v[66:67], v[104:105], v[112:113]
	v_fma_f64 v[64:65], s[2:3], v[62:63], v[16:17]
	v_fmac_f64_e32 v[16:17], s[6:7], v[62:63]
	v_add_f64 v[62:63], v[18:19], v[104:105]
	v_fmac_f64_e32 v[18:19], -0.5, v[66:67]
	v_add_f64 v[68:69], v[110:111], -v[106:107]
	v_add_f64 v[70:71], v[114:115], v[118:119]
	v_mul_f64 v[144:145], v[144:145], v[78:79]
	v_fma_f64 v[66:67], s[6:7], v[68:69], v[18:19]
	v_fmac_f64_e32 v[18:19], s[2:3], v[68:69]
	v_add_f64 v[68:69], v[12:13], v[114:115]
	v_fmac_f64_e32 v[12:13], -0.5, v[70:71]
	v_add_f64 v[70:71], v[116:117], -v[124:125]
	v_add_f64 v[74:75], v[116:117], v[124:125]
	v_fmac_f64_e32 v[144:145], v[146:147], v[76:77]
	v_fma_f64 v[72:73], s[2:3], v[70:71], v[12:13]
	v_fmac_f64_e32 v[12:13], s[6:7], v[70:71]
	v_add_f64 v[70:71], v[14:15], v[116:117]
	v_fmac_f64_e32 v[14:15], -0.5, v[74:75]
	v_add_f64 v[76:77], v[114:115], -v[118:119]
	v_add_f64 v[78:79], v[126:127], v[122:123]
	v_fma_f64 v[74:75], s[6:7], v[76:77], v[14:15]
	v_fmac_f64_e32 v[14:15], s[2:3], v[76:77]
	v_add_f64 v[76:77], v[8:9], v[126:127]
	v_fmac_f64_e32 v[8:9], -0.5, v[78:79]
	v_add_f64 v[78:79], v[120:121], -v[128:129]
	v_add_f64 v[82:83], v[120:121], v[128:129]
	v_add_f64 v[36:37], v[36:37], v[86:87]
	v_fma_f64 v[80:81], s[2:3], v[78:79], v[8:9]
	v_fmac_f64_e32 v[8:9], s[6:7], v[78:79]
	v_add_f64 v[78:79], v[10:11], v[120:121]
	v_fmac_f64_e32 v[10:11], -0.5, v[82:83]
	v_add_f64 v[84:85], v[126:127], -v[122:123]
	v_add_f64 v[86:87], v[130:131], v[134:135]
	v_add_f64 v[38:39], v[38:39], v[92:93]
	;; [unrolled: 1-line block ×3, first 2 shown]
	v_fma_f64 v[82:83], s[6:7], v[84:85], v[10:11]
	v_fmac_f64_e32 v[10:11], s[2:3], v[84:85]
	v_add_f64 v[84:85], v[4:5], v[130:131]
	v_fmac_f64_e32 v[4:5], -0.5, v[86:87]
	v_add_f64 v[86:87], v[132:133], -v[140:141]
	v_add_f64 v[90:91], v[132:133], v[140:141]
	v_add_f64 v[46:47], v[46:47], v[96:97]
	;; [unrolled: 1-line block ×8, first 2 shown]
	v_fma_f64 v[88:89], s[2:3], v[86:87], v[4:5]
	v_fmac_f64_e32 v[4:5], s[6:7], v[86:87]
	v_add_f64 v[86:87], v[6:7], v[132:133]
	v_fmac_f64_e32 v[6:7], -0.5, v[90:91]
	v_add_f64 v[92:93], v[130:131], -v[134:135]
	v_add_f64 v[94:95], v[142:143], v[138:139]
	ds_write_b128 v178, v[36:39]
	ds_write_b128 v178, v[40:43] offset:1664
	ds_write_b128 v178, v[28:31] offset:3328
	;; [unrolled: 1-line block ×11, first 2 shown]
	v_lshl_add_u32 v16, v34, 4, 0
	v_add_f64 v[76:77], v[76:77], v[122:123]
	v_add_f64 v[78:79], v[78:79], v[128:129]
	v_fma_f64 v[90:91], s[6:7], v[92:93], v[6:7]
	v_fmac_f64_e32 v[6:7], s[2:3], v[92:93]
	v_add_f64 v[92:93], v[0:1], v[142:143]
	v_fmac_f64_e32 v[0:1], -0.5, v[94:95]
	v_add_f64 v[94:95], v[136:137], -v[144:145]
	v_add_f64 v[98:99], v[136:137], v[144:145]
	ds_write_b128 v16, v[68:71] offset:9984
	ds_write_b128 v16, v[72:75] offset:11648
	;; [unrolled: 1-line block ×3, first 2 shown]
	v_lshl_add_u32 v12, v35, 4, 0
	v_add_f64 v[84:85], v[84:85], v[134:135]
	v_add_f64 v[86:87], v[86:87], v[140:141]
	v_fma_f64 v[96:97], s[2:3], v[94:95], v[0:1]
	v_fmac_f64_e32 v[0:1], s[6:7], v[94:95]
	v_add_f64 v[94:95], v[2:3], v[136:137]
	v_fmac_f64_e32 v[2:3], -0.5, v[98:99]
	v_add_f64 v[100:101], v[142:143], -v[138:139]
	ds_write_b128 v12, v[76:79] offset:9984
	ds_write_b128 v12, v[80:83] offset:11648
	;; [unrolled: 1-line block ×3, first 2 shown]
	v_lshl_add_u32 v8, v150, 4, 0
	v_add_f64 v[92:93], v[92:93], v[138:139]
	v_add_f64 v[94:95], v[94:95], v[144:145]
	v_fma_f64 v[98:99], s[6:7], v[100:101], v[2:3]
	v_fmac_f64_e32 v[2:3], s[2:3], v[100:101]
	ds_write_b128 v8, v[84:87] offset:14976
	ds_write_b128 v8, v[88:91] offset:16640
	;; [unrolled: 1-line block ×3, first 2 shown]
	v_lshl_add_u32 v4, v151, 4, 0
	s_movk_i32 s2, 0x1000
	ds_write_b128 v4, v[92:95] offset:14976
	ds_write_b128 v4, v[96:99] offset:16640
	;; [unrolled: 1-line block ×3, first 2 shown]
	v_add_co_u32_e32 v0, vcc, s2, v32
	s_waitcnt lgkmcnt(0)
	s_nop 0
	v_addc_co_u32_e32 v1, vcc, 0, v33, vcc
	; wave barrier
	global_load_dwordx4 v[4:7], v[0:1], off offset:864
	v_lshl_add_u64 v[0:1], v[154:155], 4, s[4:5]
	v_add_co_u32_e32 v2, vcc, s2, v0
	s_movk_i32 s2, 0x2000
	s_nop 0
	v_addc_co_u32_e32 v3, vcc, 0, v1, vcc
	global_load_dwordx4 v[8:11], v[2:3], off offset:1696
	global_load_dwordx4 v[12:15], v[2:3], off offset:2528
	;; [unrolled: 1-line block ×3, first 2 shown]
	v_add_co_u32_e32 v2, vcc, s2, v0
	s_nop 1
	v_addc_co_u32_e32 v3, vcc, 0, v1, vcc
	global_load_dwordx4 v[20:23], v[2:3], off offset:96
	global_load_dwordx4 v[24:27], v[2:3], off offset:928
	ds_read_b128 v[28:31], v178
	ds_read_b128 v[34:37], v178 offset:832
	ds_read_b128 v[38:41], v178 offset:9984
	;; [unrolled: 1-line block ×23, first 2 shown]
	s_waitcnt lgkmcnt(0)
	; wave barrier
	s_waitcnt vmcnt(5) lgkmcnt(0)
	v_mul_f64 v[126:127], v[40:41], v[6:7]
	v_fma_f64 v[126:127], v[38:39], v[4:5], -v[126:127]
	v_mul_f64 v[38:39], v[38:39], v[6:7]
	v_fmac_f64_e32 v[38:39], v[40:41], v[4:5]
	s_waitcnt vmcnt(4)
	v_mul_f64 v[40:41], v[44:45], v[10:11]
	v_fma_f64 v[40:41], v[42:43], v[8:9], -v[40:41]
	v_mul_f64 v[42:43], v[42:43], v[10:11]
	v_fmac_f64_e32 v[42:43], v[44:45], v[8:9]
	s_waitcnt vmcnt(3)
	;; [unrolled: 5-line block ×5, first 2 shown]
	v_mul_f64 v[72:73], v[76:77], v[26:27]
	v_fma_f64 v[72:73], v[74:75], v[24:25], -v[72:73]
	v_mul_f64 v[74:75], v[74:75], v[26:27]
	v_fmac_f64_e32 v[74:75], v[76:77], v[24:25]
	v_mul_f64 v[76:77], v[88:89], v[6:7]
	v_fma_f64 v[76:77], v[86:87], v[4:5], -v[76:77]
	v_mul_f64 v[86:87], v[86:87], v[6:7]
	v_fmac_f64_e32 v[86:87], v[88:89], v[4:5]
	v_mul_f64 v[4:5], v[92:93], v[10:11]
	v_fma_f64 v[88:89], v[90:91], v[8:9], -v[4:5]
	v_mul_f64 v[90:91], v[90:91], v[10:11]
	v_mul_f64 v[4:5], v[104:105], v[14:15]
	v_fmac_f64_e32 v[90:91], v[92:93], v[8:9]
	v_fma_f64 v[92:93], v[102:103], v[12:13], -v[4:5]
	v_mul_f64 v[102:103], v[102:103], v[14:15]
	v_mul_f64 v[4:5], v[108:109], v[18:19]
	v_fmac_f64_e32 v[102:103], v[104:105], v[12:13]
	;; [unrolled: 4-line block ×4, first 2 shown]
	v_fma_f64 v[120:121], v[122:123], v[24:25], -v[4:5]
	v_mul_f64 v[122:123], v[122:123], v[26:27]
	v_add_f64 v[4:5], v[28:29], -v[126:127]
	v_add_f64 v[20:21], v[46:47], -v[44:45]
	v_fmac_f64_e32 v[122:123], v[124:125], v[24:25]
	v_add_f64 v[6:7], v[30:31], -v[38:39]
	v_fma_f64 v[8:9], v[28:29], 2.0, -v[4:5]
	v_add_f64 v[12:13], v[34:35], -v[40:41]
	v_add_f64 v[22:23], v[48:49], -v[54:55]
	v_fma_f64 v[24:25], v[46:47], 2.0, -v[20:21]
	v_add_f64 v[28:29], v[50:51], -v[56:57]
	v_add_f64 v[38:39], v[62:63], -v[60:61]
	;; [unrolled: 1-line block ×8, first 2 shown]
	v_fma_f64 v[10:11], v[30:31], 2.0, -v[6:7]
	v_add_f64 v[14:15], v[36:37], -v[42:43]
	v_fma_f64 v[26:27], v[48:49], 2.0, -v[22:23]
	v_add_f64 v[30:31], v[52:53], -v[58:59]
	v_fma_f64 v[42:43], v[62:63], 2.0, -v[38:39]
	v_fma_f64 v[44:45], v[64:65], 2.0, -v[40:41]
	v_add_f64 v[48:49], v[68:69], -v[74:75]
	v_fma_f64 v[58:59], v[78:79], 2.0, -v[54:55]
	v_fma_f64 v[60:61], v[80:81], 2.0, -v[56:57]
	v_add_f64 v[62:63], v[82:83], -v[88:89]
	v_add_f64 v[64:65], v[84:85], -v[90:91]
	v_fma_f64 v[74:75], v[94:95], 2.0, -v[70:71]
	v_fma_f64 v[76:77], v[96:97], 2.0, -v[72:73]
	v_add_f64 v[78:79], v[98:99], -v[104:105]
	v_add_f64 v[80:81], v[100:101], -v[106:107]
	;; [unrolled: 1-line block ×6, first 2 shown]
	v_fma_f64 v[16:17], v[34:35], 2.0, -v[12:13]
	v_fma_f64 v[18:19], v[36:37], 2.0, -v[14:15]
	;; [unrolled: 1-line block ×14, first 2 shown]
	ds_write_b128 v178, v[8:11]
	ds_write_b128 v178, v[4:7] offset:4992
	ds_write_b128 v178, v[16:19] offset:832
	;; [unrolled: 1-line block ×23, first 2 shown]
	v_add_co_u32_e32 v4, vcc, s2, v32
	s_waitcnt lgkmcnt(0)
	s_nop 0
	v_addc_co_u32_e32 v5, vcc, 0, v33, vcc
	; wave barrier
	global_load_dwordx4 v[4:7], v[4:5], off offset:1760
	s_nop 0
	global_load_dwordx4 v[8:11], v[2:3], off offset:2592
	global_load_dwordx4 v[12:15], v[2:3], off offset:3424
	s_movk_i32 s2, 0x3000
	v_add_co_u32_e32 v2, vcc, s2, v0
	s_movk_i32 s2, 0x4000
	s_nop 0
	v_addc_co_u32_e32 v3, vcc, 0, v1, vcc
	global_load_dwordx4 v[16:19], v[2:3], off offset:160
	global_load_dwordx4 v[20:23], v[2:3], off offset:992
	;; [unrolled: 1-line block ×5, first 2 shown]
	v_add_co_u32_e32 v48, vcc, s2, v0
	s_nop 1
	v_addc_co_u32_e32 v49, vcc, 0, v1, vcc
	global_load_dwordx4 v[0:3], v[48:49], off offset:224
	global_load_dwordx4 v[36:39], v[48:49], off offset:1056
	;; [unrolled: 1-line block ×4, first 2 shown]
	ds_read_b128 v[48:51], v178
	ds_read_b128 v[52:55], v178 offset:832
	ds_read_b128 v[56:59], v178 offset:9984
	ds_read_b128 v[60:63], v178 offset:10816
	ds_read_b128 v[64:67], v178 offset:1664
	ds_read_b128 v[68:71], v178 offset:2496
	ds_read_b128 v[72:75], v178 offset:11648
	ds_read_b128 v[76:79], v178 offset:12480
	ds_read_b128 v[80:83], v178 offset:3328
	ds_read_b128 v[84:87], v178 offset:4160
	ds_read_b128 v[88:91], v178 offset:13312
	ds_read_b128 v[92:95], v178 offset:14144
	ds_read_b128 v[96:99], v178 offset:4992
	ds_read_b128 v[100:103], v178 offset:5824
	ds_read_b128 v[104:107], v178 offset:14976
	ds_read_b128 v[108:111], v178 offset:15808
	ds_read_b128 v[112:115], v178 offset:6656
	ds_read_b128 v[116:119], v178 offset:7488
	ds_read_b128 v[120:123], v178 offset:16640
	ds_read_b128 v[124:127], v178 offset:17472
	ds_read_b128 v[128:131], v178 offset:8320
	ds_read_b128 v[132:135], v178 offset:9152
	ds_read_b128 v[136:139], v178 offset:18304
	ds_read_b128 v[140:143], v178 offset:19136
	s_waitcnt lgkmcnt(0)
	; wave barrier
	s_waitcnt vmcnt(11) lgkmcnt(0)
	v_mul_f64 v[144:145], v[58:59], v[6:7]
	v_mul_f64 v[6:7], v[56:57], v[6:7]
	v_fma_f64 v[144:145], v[56:57], v[4:5], -v[144:145]
	v_fmac_f64_e32 v[6:7], v[58:59], v[4:5]
	s_waitcnt vmcnt(10)
	v_mul_f64 v[4:5], v[62:63], v[10:11]
	v_fma_f64 v[56:57], v[60:61], v[8:9], -v[4:5]
	s_waitcnt vmcnt(9)
	v_mul_f64 v[4:5], v[74:75], v[14:15]
	v_mul_f64 v[10:11], v[60:61], v[10:11]
	v_fma_f64 v[58:59], v[72:73], v[12:13], -v[4:5]
	s_waitcnt vmcnt(8)
	v_mul_f64 v[4:5], v[78:79], v[18:19]
	v_fmac_f64_e32 v[10:11], v[62:63], v[8:9]
	v_mul_f64 v[60:61], v[72:73], v[14:15]
	v_fma_f64 v[62:63], v[76:77], v[16:17], -v[4:5]
	s_waitcnt vmcnt(7)
	v_mul_f64 v[4:5], v[90:91], v[22:23]
	v_fmac_f64_e32 v[60:61], v[74:75], v[12:13]
	v_mul_f64 v[72:73], v[76:77], v[18:19]
	v_fma_f64 v[74:75], v[88:89], v[20:21], -v[4:5]
	s_waitcnt vmcnt(6)
	v_mul_f64 v[4:5], v[94:95], v[26:27]
	v_fmac_f64_e32 v[72:73], v[78:79], v[16:17]
	v_mul_f64 v[76:77], v[88:89], v[22:23]
	v_fma_f64 v[78:79], v[92:93], v[24:25], -v[4:5]
	s_waitcnt vmcnt(5)
	v_mul_f64 v[4:5], v[106:107], v[30:31]
	v_fmac_f64_e32 v[76:77], v[90:91], v[20:21]
	v_mul_f64 v[88:89], v[92:93], v[26:27]
	v_fma_f64 v[90:91], v[104:105], v[28:29], -v[4:5]
	s_waitcnt vmcnt(4)
	v_mul_f64 v[4:5], v[110:111], v[34:35]
	v_fmac_f64_e32 v[88:89], v[94:95], v[24:25]
	v_mul_f64 v[92:93], v[104:105], v[30:31]
	v_fma_f64 v[94:95], v[108:109], v[32:33], -v[4:5]
	v_mul_f64 v[104:105], v[108:109], v[34:35]
	s_waitcnt vmcnt(3)
	v_mul_f64 v[4:5], v[122:123], v[2:3]
	v_mul_f64 v[108:109], v[120:121], v[2:3]
	v_fmac_f64_e32 v[92:93], v[106:107], v[28:29]
	v_fma_f64 v[106:107], v[120:121], v[0:1], -v[4:5]
	v_fmac_f64_e32 v[108:109], v[122:123], v[0:1]
	s_waitcnt vmcnt(2)
	v_mul_f64 v[0:1], v[126:127], v[38:39]
	v_fmac_f64_e32 v[104:105], v[110:111], v[32:33]
	v_fma_f64 v[110:111], v[124:125], v[36:37], -v[0:1]
	s_waitcnt vmcnt(1)
	v_mul_f64 v[0:1], v[138:139], v[42:43]
	v_mul_f64 v[120:121], v[124:125], v[38:39]
	v_fma_f64 v[122:123], v[136:137], v[40:41], -v[0:1]
	v_mul_f64 v[124:125], v[136:137], v[42:43]
	s_waitcnt vmcnt(0)
	v_mul_f64 v[0:1], v[142:143], v[46:47]
	v_mul_f64 v[136:137], v[140:141], v[46:47]
	v_fmac_f64_e32 v[120:121], v[126:127], v[36:37]
	v_fmac_f64_e32 v[124:125], v[138:139], v[40:41]
	v_fma_f64 v[126:127], v[140:141], v[44:45], -v[0:1]
	v_fmac_f64_e32 v[136:137], v[142:143], v[44:45]
	v_add_f64 v[0:1], v[48:49], -v[144:145]
	v_add_f64 v[2:3], v[50:51], -v[6:7]
	;; [unrolled: 1-line block ×6, first 2 shown]
	v_fma_f64 v[4:5], v[48:49], 2.0, -v[0:1]
	v_fma_f64 v[6:7], v[50:51], 2.0, -v[2:3]
	v_add_f64 v[8:9], v[52:53], -v[56:57]
	v_add_f64 v[10:11], v[54:55], -v[10:11]
	v_fma_f64 v[20:21], v[64:65], 2.0, -v[16:17]
	v_fma_f64 v[22:23], v[66:67], 2.0, -v[18:19]
	v_add_f64 v[24:25], v[68:69], -v[62:63]
	v_add_f64 v[26:27], v[70:71], -v[72:73]
	;; [unrolled: 4-line block ×3, first 2 shown]
	v_add_f64 v[48:49], v[96:97], -v[90:91]
	v_add_f64 v[50:51], v[98:99], -v[92:93]
	;; [unrolled: 1-line block ×12, first 2 shown]
	v_fma_f64 v[12:13], v[52:53], 2.0, -v[8:9]
	v_fma_f64 v[14:15], v[54:55], 2.0, -v[10:11]
	;; [unrolled: 1-line block ×18, first 2 shown]
	ds_write_b128 v178, v[4:7]
	ds_write_b128 v178, v[0:3] offset:9984
	ds_write_b128 v178, v[12:15] offset:832
	;; [unrolled: 1-line block ×23, first 2 shown]
	s_waitcnt lgkmcnt(0)
	; wave barrier
	s_waitcnt lgkmcnt(0)
	s_and_saveexec_b64 s[2:3], s[0:1]
	s_cbranch_execz .LBB0_23
; %bb.22:
	v_lshl_add_u32 v10, v154, 4, 0
	ds_read_b128 v[0:3], v10
	ds_read_b128 v[4:7], v10 offset:832
	v_mov_b32_e32 v155, v157
	v_add_u32_e32 v156, 52, v154
	v_lshl_add_u64 v[8:9], v[154:155], 4, v[152:153]
	s_waitcnt lgkmcnt(1)
	global_store_dwordx4 v[8:9], v[0:3], off
	v_lshl_add_u64 v[8:9], v[156:157], 4, v[152:153]
	ds_read_b128 v[0:3], v10 offset:1664
	s_waitcnt lgkmcnt(1)
	global_store_dwordx4 v[8:9], v[4:7], off
	ds_read_b128 v[4:7], v10 offset:2496
	v_add_u32_e32 v156, 0x68, v154
	v_lshl_add_u64 v[8:9], v[156:157], 4, v[152:153]
	v_add_u32_e32 v156, 0x9c, v154
	s_waitcnt lgkmcnt(1)
	global_store_dwordx4 v[8:9], v[0:3], off
	v_lshl_add_u64 v[8:9], v[156:157], 4, v[152:153]
	ds_read_b128 v[0:3], v10 offset:3328
	s_waitcnt lgkmcnt(1)
	global_store_dwordx4 v[8:9], v[4:7], off
	ds_read_b128 v[4:7], v10 offset:4160
	v_add_u32_e32 v156, 0xd0, v154
	v_lshl_add_u64 v[8:9], v[156:157], 4, v[152:153]
	v_add_u32_e32 v156, 0x104, v154
	;; [unrolled: 10-line block ×11, first 2 shown]
	s_waitcnt lgkmcnt(1)
	global_store_dwordx4 v[8:9], v[0:3], off
	s_nop 1
	v_lshl_add_u64 v[0:1], v[156:157], 4, v[152:153]
	s_waitcnt lgkmcnt(0)
	global_store_dwordx4 v[0:1], v[4:7], off
.LBB0_23:
	s_endpgm
	.section	.rodata,"a",@progbits
	.p2align	6, 0x0
	.amdhsa_kernel fft_rtc_fwd_len1248_factors_2_2_13_2_3_2_2_wgs_52_tpt_52_halfLds_dp_ip_CI_unitstride_sbrr_C2R_dirReg
		.amdhsa_group_segment_fixed_size 0
		.amdhsa_private_segment_fixed_size 0
		.amdhsa_kernarg_size 88
		.amdhsa_user_sgpr_count 2
		.amdhsa_user_sgpr_dispatch_ptr 0
		.amdhsa_user_sgpr_queue_ptr 0
		.amdhsa_user_sgpr_kernarg_segment_ptr 1
		.amdhsa_user_sgpr_dispatch_id 0
		.amdhsa_user_sgpr_kernarg_preload_length 0
		.amdhsa_user_sgpr_kernarg_preload_offset 0
		.amdhsa_user_sgpr_private_segment_size 0
		.amdhsa_uses_dynamic_stack 0
		.amdhsa_enable_private_segment 0
		.amdhsa_system_sgpr_workgroup_id_x 1
		.amdhsa_system_sgpr_workgroup_id_y 0
		.amdhsa_system_sgpr_workgroup_id_z 0
		.amdhsa_system_sgpr_workgroup_info 0
		.amdhsa_system_vgpr_workitem_id 0
		.amdhsa_next_free_vgpr 222
		.amdhsa_next_free_sgpr 44
		.amdhsa_accum_offset 224
		.amdhsa_reserve_vcc 1
		.amdhsa_float_round_mode_32 0
		.amdhsa_float_round_mode_16_64 0
		.amdhsa_float_denorm_mode_32 3
		.amdhsa_float_denorm_mode_16_64 3
		.amdhsa_dx10_clamp 1
		.amdhsa_ieee_mode 1
		.amdhsa_fp16_overflow 0
		.amdhsa_tg_split 0
		.amdhsa_exception_fp_ieee_invalid_op 0
		.amdhsa_exception_fp_denorm_src 0
		.amdhsa_exception_fp_ieee_div_zero 0
		.amdhsa_exception_fp_ieee_overflow 0
		.amdhsa_exception_fp_ieee_underflow 0
		.amdhsa_exception_fp_ieee_inexact 0
		.amdhsa_exception_int_div_zero 0
	.end_amdhsa_kernel
	.text
.Lfunc_end0:
	.size	fft_rtc_fwd_len1248_factors_2_2_13_2_3_2_2_wgs_52_tpt_52_halfLds_dp_ip_CI_unitstride_sbrr_C2R_dirReg, .Lfunc_end0-fft_rtc_fwd_len1248_factors_2_2_13_2_3_2_2_wgs_52_tpt_52_halfLds_dp_ip_CI_unitstride_sbrr_C2R_dirReg
                                        ; -- End function
	.section	.AMDGPU.csdata,"",@progbits
; Kernel info:
; codeLenInByte = 20776
; NumSgprs: 50
; NumVgprs: 222
; NumAgprs: 0
; TotalNumVgprs: 222
; ScratchSize: 0
; MemoryBound: 0
; FloatMode: 240
; IeeeMode: 1
; LDSByteSize: 0 bytes/workgroup (compile time only)
; SGPRBlocks: 6
; VGPRBlocks: 27
; NumSGPRsForWavesPerEU: 50
; NumVGPRsForWavesPerEU: 222
; AccumOffset: 224
; Occupancy: 2
; WaveLimiterHint : 1
; COMPUTE_PGM_RSRC2:SCRATCH_EN: 0
; COMPUTE_PGM_RSRC2:USER_SGPR: 2
; COMPUTE_PGM_RSRC2:TRAP_HANDLER: 0
; COMPUTE_PGM_RSRC2:TGID_X_EN: 1
; COMPUTE_PGM_RSRC2:TGID_Y_EN: 0
; COMPUTE_PGM_RSRC2:TGID_Z_EN: 0
; COMPUTE_PGM_RSRC2:TIDIG_COMP_CNT: 0
; COMPUTE_PGM_RSRC3_GFX90A:ACCUM_OFFSET: 55
; COMPUTE_PGM_RSRC3_GFX90A:TG_SPLIT: 0
	.text
	.p2alignl 6, 3212836864
	.fill 256, 4, 3212836864
	.type	__hip_cuid_580bfbe80f3fdfc6,@object ; @__hip_cuid_580bfbe80f3fdfc6
	.section	.bss,"aw",@nobits
	.globl	__hip_cuid_580bfbe80f3fdfc6
__hip_cuid_580bfbe80f3fdfc6:
	.byte	0                               ; 0x0
	.size	__hip_cuid_580bfbe80f3fdfc6, 1

	.ident	"AMD clang version 19.0.0git (https://github.com/RadeonOpenCompute/llvm-project roc-6.4.0 25133 c7fe45cf4b819c5991fe208aaa96edf142730f1d)"
	.section	".note.GNU-stack","",@progbits
	.addrsig
	.addrsig_sym __hip_cuid_580bfbe80f3fdfc6
	.amdgpu_metadata
---
amdhsa.kernels:
  - .agpr_count:     0
    .args:
      - .actual_access:  read_only
        .address_space:  global
        .offset:         0
        .size:           8
        .value_kind:     global_buffer
      - .offset:         8
        .size:           8
        .value_kind:     by_value
      - .actual_access:  read_only
        .address_space:  global
        .offset:         16
        .size:           8
        .value_kind:     global_buffer
      - .actual_access:  read_only
        .address_space:  global
        .offset:         24
        .size:           8
        .value_kind:     global_buffer
      - .offset:         32
        .size:           8
        .value_kind:     by_value
      - .actual_access:  read_only
        .address_space:  global
        .offset:         40
        .size:           8
        .value_kind:     global_buffer
      - .actual_access:  read_only
        .address_space:  global
        .offset:         48
        .size:           8
        .value_kind:     global_buffer
      - .offset:         56
        .size:           4
        .value_kind:     by_value
      - .actual_access:  read_only
        .address_space:  global
        .offset:         64
        .size:           8
        .value_kind:     global_buffer
      - .actual_access:  read_only
        .address_space:  global
        .offset:         72
        .size:           8
        .value_kind:     global_buffer
      - .address_space:  global
        .offset:         80
        .size:           8
        .value_kind:     global_buffer
    .group_segment_fixed_size: 0
    .kernarg_segment_align: 8
    .kernarg_segment_size: 88
    .language:       OpenCL C
    .language_version:
      - 2
      - 0
    .max_flat_workgroup_size: 52
    .name:           fft_rtc_fwd_len1248_factors_2_2_13_2_3_2_2_wgs_52_tpt_52_halfLds_dp_ip_CI_unitstride_sbrr_C2R_dirReg
    .private_segment_fixed_size: 0
    .sgpr_count:     50
    .sgpr_spill_count: 0
    .symbol:         fft_rtc_fwd_len1248_factors_2_2_13_2_3_2_2_wgs_52_tpt_52_halfLds_dp_ip_CI_unitstride_sbrr_C2R_dirReg.kd
    .uniform_work_group_size: 1
    .uses_dynamic_stack: false
    .vgpr_count:     222
    .vgpr_spill_count: 0
    .wavefront_size: 64
amdhsa.target:   amdgcn-amd-amdhsa--gfx950
amdhsa.version:
  - 1
  - 2
...

	.end_amdgpu_metadata
